;; amdgpu-corpus repo=ROCm/rccl kind=compiled arch=gfx906 opt=O3
	.amdgcn_target "amdgcn-amd-amdhsa--gfx906"
	.amdhsa_code_object_version 6
	.text
	.protected	_Z10PingKernelPmS_S_    ; -- Begin function _Z10PingKernelPmS_S_
	.globl	_Z10PingKernelPmS_S_
	.p2align	8
	.type	_Z10PingKernelPmS_S_,@function
_Z10PingKernelPmS_S_:                   ; @_Z10PingKernelPmS_S_
; %bb.0:
	s_load_dwordx4 s[0:3], s[4:5], 0x0
	s_load_dwordx2 s[6:7], s[4:5], 0x10
	s_mov_b32 s4, 1
	s_mov_b32 s5, 0
	v_mov_b32_e32 v0, 0
.LBB0_1:                                ; =>This Loop Header: Depth=1
                                        ;     Child Loop BB0_2 Depth 2
                                        ;     Child Loop BB0_4 Depth 2
	;; [unrolled: 1-line block ×1000, first 2 shown]
	v_mov_b32_e32 v1, s4
	v_mov_b32_e32 v2, s5
	s_waitcnt lgkmcnt(0)
	global_store_dwordx2 v0, v[1:2], s[2:3]
.LBB0_2:                                ;   Parent Loop BB0_1 Depth=1
                                        ; =>  This Inner Loop Header: Depth=2
	global_load_dwordx2 v[1:2], v0, s[0:1] glc
	s_waitcnt vmcnt(0)
	v_cmp_ne_u64_e32 vcc, s[4:5], v[1:2]
	s_cbranch_vccnz .LBB0_2
; %bb.3:                                ;   in Loop: Header=BB0_1 Depth=1
	s_add_i32 s8, s4, 1
	s_mov_b32 s9, s5
	v_mov_b32_e32 v1, s8
	v_mov_b32_e32 v2, s9
	global_store_dwordx2 v0, v[1:2], s[2:3]
.LBB0_4:                                ;   Parent Loop BB0_1 Depth=1
                                        ; =>  This Inner Loop Header: Depth=2
	global_load_dwordx2 v[1:2], v0, s[0:1] glc
	s_waitcnt vmcnt(0)
	v_cmp_ne_u64_e32 vcc, s[8:9], v[1:2]
	s_cbranch_vccnz .LBB0_4
; %bb.5:                                ;   in Loop: Header=BB0_1 Depth=1
	s_add_i32 s8, s4, 2
	s_mov_b32 s9, s5
	v_mov_b32_e32 v1, s8
	v_mov_b32_e32 v2, s9
	;; [unrolled: 12-line block ×4, first 2 shown]
	global_store_dwordx2 v0, v[1:2], s[2:3]
.LBB0_10:                               ;   Parent Loop BB0_1 Depth=1
                                        ; =>  This Inner Loop Header: Depth=2
	global_load_dwordx2 v[1:2], v0, s[0:1] glc
	s_waitcnt vmcnt(0)
	v_cmp_ne_u64_e32 vcc, s[8:9], v[1:2]
	s_cbranch_vccnz .LBB0_10
; %bb.11:                               ;   in Loop: Header=BB0_1 Depth=1
	s_add_i32 s8, s4, 5
	s_mov_b32 s9, s5
	v_mov_b32_e32 v1, s8
	v_mov_b32_e32 v2, s9
	global_store_dwordx2 v0, v[1:2], s[2:3]
.LBB0_12:                               ;   Parent Loop BB0_1 Depth=1
                                        ; =>  This Inner Loop Header: Depth=2
	global_load_dwordx2 v[1:2], v0, s[0:1] glc
	s_waitcnt vmcnt(0)
	v_cmp_ne_u64_e32 vcc, s[8:9], v[1:2]
	s_cbranch_vccnz .LBB0_12
; %bb.13:                               ;   in Loop: Header=BB0_1 Depth=1
	s_add_i32 s8, s4, 6
	s_mov_b32 s9, s5
	v_mov_b32_e32 v1, s8
	v_mov_b32_e32 v2, s9
	;; [unrolled: 12-line block ×45, first 2 shown]
	global_store_dwordx2 v0, v[1:2], s[2:3]
.LBB0_100:                              ;   Parent Loop BB0_1 Depth=1
                                        ; =>  This Inner Loop Header: Depth=2
	global_load_dwordx2 v[1:2], v0, s[0:1] glc
	s_waitcnt vmcnt(0)
	v_cmp_ne_u64_e32 vcc, s[8:9], v[1:2]
	s_cbranch_vccnz .LBB0_100
; %bb.101:                              ;   in Loop: Header=BB0_1 Depth=1
	s_add_i32 s8, s4, 50
	s_mov_b32 s9, s5
	v_mov_b32_e32 v1, s8
	v_mov_b32_e32 v2, s9
	global_store_dwordx2 v0, v[1:2], s[2:3]
.LBB0_102:                              ;   Parent Loop BB0_1 Depth=1
                                        ; =>  This Inner Loop Header: Depth=2
	global_load_dwordx2 v[1:2], v0, s[0:1] glc
	s_waitcnt vmcnt(0)
	v_cmp_ne_u64_e32 vcc, s[8:9], v[1:2]
	s_cbranch_vccnz .LBB0_102
; %bb.103:                              ;   in Loop: Header=BB0_1 Depth=1
	s_add_i32 s8, s4, 51
	s_mov_b32 s9, s5
	v_mov_b32_e32 v1, s8
	v_mov_b32_e32 v2, s9
	global_store_dwordx2 v0, v[1:2], s[2:3]
.LBB0_104:                              ;   Parent Loop BB0_1 Depth=1
                                        ; =>  This Inner Loop Header: Depth=2
	global_load_dwordx2 v[1:2], v0, s[0:1] glc
	s_waitcnt vmcnt(0)
	v_cmp_ne_u64_e32 vcc, s[8:9], v[1:2]
	s_cbranch_vccnz .LBB0_104
; %bb.105:                              ;   in Loop: Header=BB0_1 Depth=1
	s_add_i32 s8, s4, 52
	s_mov_b32 s9, s5
	v_mov_b32_e32 v1, s8
	v_mov_b32_e32 v2, s9
	global_store_dwordx2 v0, v[1:2], s[2:3]
.LBB0_106:                              ;   Parent Loop BB0_1 Depth=1
                                        ; =>  This Inner Loop Header: Depth=2
	global_load_dwordx2 v[1:2], v0, s[0:1] glc
	s_waitcnt vmcnt(0)
	v_cmp_ne_u64_e32 vcc, s[8:9], v[1:2]
	s_cbranch_vccnz .LBB0_106
; %bb.107:                              ;   in Loop: Header=BB0_1 Depth=1
	s_add_i32 s8, s4, 53
	s_mov_b32 s9, s5
	v_mov_b32_e32 v1, s8
	v_mov_b32_e32 v2, s9
	global_store_dwordx2 v0, v[1:2], s[2:3]
.LBB0_108:                              ;   Parent Loop BB0_1 Depth=1
                                        ; =>  This Inner Loop Header: Depth=2
	global_load_dwordx2 v[1:2], v0, s[0:1] glc
	s_waitcnt vmcnt(0)
	v_cmp_ne_u64_e32 vcc, s[8:9], v[1:2]
	s_cbranch_vccnz .LBB0_108
; %bb.109:                              ;   in Loop: Header=BB0_1 Depth=1
	s_add_i32 s8, s4, 54
	s_mov_b32 s9, s5
	v_mov_b32_e32 v1, s8
	v_mov_b32_e32 v2, s9
	global_store_dwordx2 v0, v[1:2], s[2:3]
.LBB0_110:                              ;   Parent Loop BB0_1 Depth=1
                                        ; =>  This Inner Loop Header: Depth=2
	global_load_dwordx2 v[1:2], v0, s[0:1] glc
	s_waitcnt vmcnt(0)
	v_cmp_ne_u64_e32 vcc, s[8:9], v[1:2]
	s_cbranch_vccnz .LBB0_110
; %bb.111:                              ;   in Loop: Header=BB0_1 Depth=1
	s_add_i32 s8, s4, 55
	s_mov_b32 s9, s5
	v_mov_b32_e32 v1, s8
	v_mov_b32_e32 v2, s9
	global_store_dwordx2 v0, v[1:2], s[2:3]
.LBB0_112:                              ;   Parent Loop BB0_1 Depth=1
                                        ; =>  This Inner Loop Header: Depth=2
	global_load_dwordx2 v[1:2], v0, s[0:1] glc
	s_waitcnt vmcnt(0)
	v_cmp_ne_u64_e32 vcc, s[8:9], v[1:2]
	s_cbranch_vccnz .LBB0_112
; %bb.113:                              ;   in Loop: Header=BB0_1 Depth=1
	s_add_i32 s8, s4, 56
	s_mov_b32 s9, s5
	v_mov_b32_e32 v1, s8
	v_mov_b32_e32 v2, s9
	global_store_dwordx2 v0, v[1:2], s[2:3]
.LBB0_114:                              ;   Parent Loop BB0_1 Depth=1
                                        ; =>  This Inner Loop Header: Depth=2
	global_load_dwordx2 v[1:2], v0, s[0:1] glc
	s_waitcnt vmcnt(0)
	v_cmp_ne_u64_e32 vcc, s[8:9], v[1:2]
	s_cbranch_vccnz .LBB0_114
; %bb.115:                              ;   in Loop: Header=BB0_1 Depth=1
	s_add_i32 s8, s4, 57
	s_mov_b32 s9, s5
	v_mov_b32_e32 v1, s8
	v_mov_b32_e32 v2, s9
	global_store_dwordx2 v0, v[1:2], s[2:3]
.LBB0_116:                              ;   Parent Loop BB0_1 Depth=1
                                        ; =>  This Inner Loop Header: Depth=2
	global_load_dwordx2 v[1:2], v0, s[0:1] glc
	s_waitcnt vmcnt(0)
	v_cmp_ne_u64_e32 vcc, s[8:9], v[1:2]
	s_cbranch_vccnz .LBB0_116
; %bb.117:                              ;   in Loop: Header=BB0_1 Depth=1
	s_add_i32 s8, s4, 58
	s_mov_b32 s9, s5
	v_mov_b32_e32 v1, s8
	v_mov_b32_e32 v2, s9
	global_store_dwordx2 v0, v[1:2], s[2:3]
.LBB0_118:                              ;   Parent Loop BB0_1 Depth=1
                                        ; =>  This Inner Loop Header: Depth=2
	global_load_dwordx2 v[1:2], v0, s[0:1] glc
	s_waitcnt vmcnt(0)
	v_cmp_ne_u64_e32 vcc, s[8:9], v[1:2]
	s_cbranch_vccnz .LBB0_118
; %bb.119:                              ;   in Loop: Header=BB0_1 Depth=1
	s_add_i32 s8, s4, 59
	s_mov_b32 s9, s5
	v_mov_b32_e32 v1, s8
	v_mov_b32_e32 v2, s9
	global_store_dwordx2 v0, v[1:2], s[2:3]
.LBB0_120:                              ;   Parent Loop BB0_1 Depth=1
                                        ; =>  This Inner Loop Header: Depth=2
	global_load_dwordx2 v[1:2], v0, s[0:1] glc
	s_waitcnt vmcnt(0)
	v_cmp_ne_u64_e32 vcc, s[8:9], v[1:2]
	s_cbranch_vccnz .LBB0_120
; %bb.121:                              ;   in Loop: Header=BB0_1 Depth=1
	s_add_i32 s8, s4, 60
	s_mov_b32 s9, s5
	v_mov_b32_e32 v1, s8
	v_mov_b32_e32 v2, s9
	global_store_dwordx2 v0, v[1:2], s[2:3]
.LBB0_122:                              ;   Parent Loop BB0_1 Depth=1
                                        ; =>  This Inner Loop Header: Depth=2
	global_load_dwordx2 v[1:2], v0, s[0:1] glc
	s_waitcnt vmcnt(0)
	v_cmp_ne_u64_e32 vcc, s[8:9], v[1:2]
	s_cbranch_vccnz .LBB0_122
; %bb.123:                              ;   in Loop: Header=BB0_1 Depth=1
	s_add_i32 s8, s4, 61
	s_mov_b32 s9, s5
	v_mov_b32_e32 v1, s8
	v_mov_b32_e32 v2, s9
	global_store_dwordx2 v0, v[1:2], s[2:3]
.LBB0_124:                              ;   Parent Loop BB0_1 Depth=1
                                        ; =>  This Inner Loop Header: Depth=2
	global_load_dwordx2 v[1:2], v0, s[0:1] glc
	s_waitcnt vmcnt(0)
	v_cmp_ne_u64_e32 vcc, s[8:9], v[1:2]
	s_cbranch_vccnz .LBB0_124
; %bb.125:                              ;   in Loop: Header=BB0_1 Depth=1
	s_add_i32 s8, s4, 62
	s_mov_b32 s9, s5
	v_mov_b32_e32 v1, s8
	v_mov_b32_e32 v2, s9
	global_store_dwordx2 v0, v[1:2], s[2:3]
.LBB0_126:                              ;   Parent Loop BB0_1 Depth=1
                                        ; =>  This Inner Loop Header: Depth=2
	global_load_dwordx2 v[1:2], v0, s[0:1] glc
	s_waitcnt vmcnt(0)
	v_cmp_ne_u64_e32 vcc, s[8:9], v[1:2]
	s_cbranch_vccnz .LBB0_126
; %bb.127:                              ;   in Loop: Header=BB0_1 Depth=1
	s_add_i32 s8, s4, 63
	s_mov_b32 s9, s5
	v_mov_b32_e32 v1, s8
	v_mov_b32_e32 v2, s9
	global_store_dwordx2 v0, v[1:2], s[2:3]
.LBB0_128:                              ;   Parent Loop BB0_1 Depth=1
                                        ; =>  This Inner Loop Header: Depth=2
	global_load_dwordx2 v[1:2], v0, s[0:1] glc
	s_waitcnt vmcnt(0)
	v_cmp_ne_u64_e32 vcc, s[8:9], v[1:2]
	s_cbranch_vccnz .LBB0_128
; %bb.129:                              ;   in Loop: Header=BB0_1 Depth=1
	s_add_i32 s8, s4, 64
	s_mov_b32 s9, s5
	v_mov_b32_e32 v1, s8
	v_mov_b32_e32 v2, s9
	global_store_dwordx2 v0, v[1:2], s[2:3]
.LBB0_130:                              ;   Parent Loop BB0_1 Depth=1
                                        ; =>  This Inner Loop Header: Depth=2
	global_load_dwordx2 v[1:2], v0, s[0:1] glc
	s_waitcnt vmcnt(0)
	v_cmp_ne_u64_e32 vcc, s[8:9], v[1:2]
	s_cbranch_vccnz .LBB0_130
; %bb.131:                              ;   in Loop: Header=BB0_1 Depth=1
	s_add_i32 s8, s4, 0x41
	s_mov_b32 s9, s5
	v_mov_b32_e32 v1, s8
	v_mov_b32_e32 v2, s9
	global_store_dwordx2 v0, v[1:2], s[2:3]
.LBB0_132:                              ;   Parent Loop BB0_1 Depth=1
                                        ; =>  This Inner Loop Header: Depth=2
	global_load_dwordx2 v[1:2], v0, s[0:1] glc
	s_waitcnt vmcnt(0)
	v_cmp_ne_u64_e32 vcc, s[8:9], v[1:2]
	s_cbranch_vccnz .LBB0_132
; %bb.133:                              ;   in Loop: Header=BB0_1 Depth=1
	s_add_i32 s8, s4, 0x42
	s_mov_b32 s9, s5
	v_mov_b32_e32 v1, s8
	v_mov_b32_e32 v2, s9
	global_store_dwordx2 v0, v[1:2], s[2:3]
.LBB0_134:                              ;   Parent Loop BB0_1 Depth=1
                                        ; =>  This Inner Loop Header: Depth=2
	global_load_dwordx2 v[1:2], v0, s[0:1] glc
	s_waitcnt vmcnt(0)
	v_cmp_ne_u64_e32 vcc, s[8:9], v[1:2]
	s_cbranch_vccnz .LBB0_134
; %bb.135:                              ;   in Loop: Header=BB0_1 Depth=1
	s_add_i32 s8, s4, 0x43
	s_mov_b32 s9, s5
	v_mov_b32_e32 v1, s8
	v_mov_b32_e32 v2, s9
	global_store_dwordx2 v0, v[1:2], s[2:3]
.LBB0_136:                              ;   Parent Loop BB0_1 Depth=1
                                        ; =>  This Inner Loop Header: Depth=2
	global_load_dwordx2 v[1:2], v0, s[0:1] glc
	s_waitcnt vmcnt(0)
	v_cmp_ne_u64_e32 vcc, s[8:9], v[1:2]
	s_cbranch_vccnz .LBB0_136
; %bb.137:                              ;   in Loop: Header=BB0_1 Depth=1
	s_add_i32 s8, s4, 0x44
	s_mov_b32 s9, s5
	v_mov_b32_e32 v1, s8
	v_mov_b32_e32 v2, s9
	global_store_dwordx2 v0, v[1:2], s[2:3]
.LBB0_138:                              ;   Parent Loop BB0_1 Depth=1
                                        ; =>  This Inner Loop Header: Depth=2
	global_load_dwordx2 v[1:2], v0, s[0:1] glc
	s_waitcnt vmcnt(0)
	v_cmp_ne_u64_e32 vcc, s[8:9], v[1:2]
	s_cbranch_vccnz .LBB0_138
; %bb.139:                              ;   in Loop: Header=BB0_1 Depth=1
	s_add_i32 s8, s4, 0x45
	s_mov_b32 s9, s5
	v_mov_b32_e32 v1, s8
	v_mov_b32_e32 v2, s9
	global_store_dwordx2 v0, v[1:2], s[2:3]
.LBB0_140:                              ;   Parent Loop BB0_1 Depth=1
                                        ; =>  This Inner Loop Header: Depth=2
	global_load_dwordx2 v[1:2], v0, s[0:1] glc
	s_waitcnt vmcnt(0)
	v_cmp_ne_u64_e32 vcc, s[8:9], v[1:2]
	s_cbranch_vccnz .LBB0_140
; %bb.141:                              ;   in Loop: Header=BB0_1 Depth=1
	s_add_i32 s8, s4, 0x46
	s_mov_b32 s9, s5
	v_mov_b32_e32 v1, s8
	v_mov_b32_e32 v2, s9
	global_store_dwordx2 v0, v[1:2], s[2:3]
.LBB0_142:                              ;   Parent Loop BB0_1 Depth=1
                                        ; =>  This Inner Loop Header: Depth=2
	global_load_dwordx2 v[1:2], v0, s[0:1] glc
	s_waitcnt vmcnt(0)
	v_cmp_ne_u64_e32 vcc, s[8:9], v[1:2]
	s_cbranch_vccnz .LBB0_142
; %bb.143:                              ;   in Loop: Header=BB0_1 Depth=1
	s_add_i32 s8, s4, 0x47
	s_mov_b32 s9, s5
	v_mov_b32_e32 v1, s8
	v_mov_b32_e32 v2, s9
	global_store_dwordx2 v0, v[1:2], s[2:3]
.LBB0_144:                              ;   Parent Loop BB0_1 Depth=1
                                        ; =>  This Inner Loop Header: Depth=2
	global_load_dwordx2 v[1:2], v0, s[0:1] glc
	s_waitcnt vmcnt(0)
	v_cmp_ne_u64_e32 vcc, s[8:9], v[1:2]
	s_cbranch_vccnz .LBB0_144
; %bb.145:                              ;   in Loop: Header=BB0_1 Depth=1
	s_add_i32 s8, s4, 0x48
	s_mov_b32 s9, s5
	v_mov_b32_e32 v1, s8
	v_mov_b32_e32 v2, s9
	global_store_dwordx2 v0, v[1:2], s[2:3]
.LBB0_146:                              ;   Parent Loop BB0_1 Depth=1
                                        ; =>  This Inner Loop Header: Depth=2
	global_load_dwordx2 v[1:2], v0, s[0:1] glc
	s_waitcnt vmcnt(0)
	v_cmp_ne_u64_e32 vcc, s[8:9], v[1:2]
	s_cbranch_vccnz .LBB0_146
; %bb.147:                              ;   in Loop: Header=BB0_1 Depth=1
	s_add_i32 s8, s4, 0x49
	s_mov_b32 s9, s5
	v_mov_b32_e32 v1, s8
	v_mov_b32_e32 v2, s9
	global_store_dwordx2 v0, v[1:2], s[2:3]
.LBB0_148:                              ;   Parent Loop BB0_1 Depth=1
                                        ; =>  This Inner Loop Header: Depth=2
	global_load_dwordx2 v[1:2], v0, s[0:1] glc
	s_waitcnt vmcnt(0)
	v_cmp_ne_u64_e32 vcc, s[8:9], v[1:2]
	s_cbranch_vccnz .LBB0_148
; %bb.149:                              ;   in Loop: Header=BB0_1 Depth=1
	s_add_i32 s8, s4, 0x4a
	s_mov_b32 s9, s5
	v_mov_b32_e32 v1, s8
	v_mov_b32_e32 v2, s9
	global_store_dwordx2 v0, v[1:2], s[2:3]
.LBB0_150:                              ;   Parent Loop BB0_1 Depth=1
                                        ; =>  This Inner Loop Header: Depth=2
	global_load_dwordx2 v[1:2], v0, s[0:1] glc
	s_waitcnt vmcnt(0)
	v_cmp_ne_u64_e32 vcc, s[8:9], v[1:2]
	s_cbranch_vccnz .LBB0_150
; %bb.151:                              ;   in Loop: Header=BB0_1 Depth=1
	s_add_i32 s8, s4, 0x4b
	s_mov_b32 s9, s5
	v_mov_b32_e32 v1, s8
	v_mov_b32_e32 v2, s9
	global_store_dwordx2 v0, v[1:2], s[2:3]
.LBB0_152:                              ;   Parent Loop BB0_1 Depth=1
                                        ; =>  This Inner Loop Header: Depth=2
	global_load_dwordx2 v[1:2], v0, s[0:1] glc
	s_waitcnt vmcnt(0)
	v_cmp_ne_u64_e32 vcc, s[8:9], v[1:2]
	s_cbranch_vccnz .LBB0_152
; %bb.153:                              ;   in Loop: Header=BB0_1 Depth=1
	s_add_i32 s8, s4, 0x4c
	s_mov_b32 s9, s5
	v_mov_b32_e32 v1, s8
	v_mov_b32_e32 v2, s9
	global_store_dwordx2 v0, v[1:2], s[2:3]
.LBB0_154:                              ;   Parent Loop BB0_1 Depth=1
                                        ; =>  This Inner Loop Header: Depth=2
	global_load_dwordx2 v[1:2], v0, s[0:1] glc
	s_waitcnt vmcnt(0)
	v_cmp_ne_u64_e32 vcc, s[8:9], v[1:2]
	s_cbranch_vccnz .LBB0_154
; %bb.155:                              ;   in Loop: Header=BB0_1 Depth=1
	s_add_i32 s8, s4, 0x4d
	s_mov_b32 s9, s5
	v_mov_b32_e32 v1, s8
	v_mov_b32_e32 v2, s9
	global_store_dwordx2 v0, v[1:2], s[2:3]
.LBB0_156:                              ;   Parent Loop BB0_1 Depth=1
                                        ; =>  This Inner Loop Header: Depth=2
	global_load_dwordx2 v[1:2], v0, s[0:1] glc
	s_waitcnt vmcnt(0)
	v_cmp_ne_u64_e32 vcc, s[8:9], v[1:2]
	s_cbranch_vccnz .LBB0_156
; %bb.157:                              ;   in Loop: Header=BB0_1 Depth=1
	s_add_i32 s8, s4, 0x4e
	s_mov_b32 s9, s5
	v_mov_b32_e32 v1, s8
	v_mov_b32_e32 v2, s9
	global_store_dwordx2 v0, v[1:2], s[2:3]
.LBB0_158:                              ;   Parent Loop BB0_1 Depth=1
                                        ; =>  This Inner Loop Header: Depth=2
	global_load_dwordx2 v[1:2], v0, s[0:1] glc
	s_waitcnt vmcnt(0)
	v_cmp_ne_u64_e32 vcc, s[8:9], v[1:2]
	s_cbranch_vccnz .LBB0_158
; %bb.159:                              ;   in Loop: Header=BB0_1 Depth=1
	s_add_i32 s8, s4, 0x4f
	s_mov_b32 s9, s5
	v_mov_b32_e32 v1, s8
	v_mov_b32_e32 v2, s9
	global_store_dwordx2 v0, v[1:2], s[2:3]
.LBB0_160:                              ;   Parent Loop BB0_1 Depth=1
                                        ; =>  This Inner Loop Header: Depth=2
	global_load_dwordx2 v[1:2], v0, s[0:1] glc
	s_waitcnt vmcnt(0)
	v_cmp_ne_u64_e32 vcc, s[8:9], v[1:2]
	s_cbranch_vccnz .LBB0_160
; %bb.161:                              ;   in Loop: Header=BB0_1 Depth=1
	s_add_i32 s8, s4, 0x50
	s_mov_b32 s9, s5
	v_mov_b32_e32 v1, s8
	v_mov_b32_e32 v2, s9
	global_store_dwordx2 v0, v[1:2], s[2:3]
.LBB0_162:                              ;   Parent Loop BB0_1 Depth=1
                                        ; =>  This Inner Loop Header: Depth=2
	global_load_dwordx2 v[1:2], v0, s[0:1] glc
	s_waitcnt vmcnt(0)
	v_cmp_ne_u64_e32 vcc, s[8:9], v[1:2]
	s_cbranch_vccnz .LBB0_162
; %bb.163:                              ;   in Loop: Header=BB0_1 Depth=1
	s_add_i32 s8, s4, 0x51
	s_mov_b32 s9, s5
	v_mov_b32_e32 v1, s8
	v_mov_b32_e32 v2, s9
	global_store_dwordx2 v0, v[1:2], s[2:3]
.LBB0_164:                              ;   Parent Loop BB0_1 Depth=1
                                        ; =>  This Inner Loop Header: Depth=2
	global_load_dwordx2 v[1:2], v0, s[0:1] glc
	s_waitcnt vmcnt(0)
	v_cmp_ne_u64_e32 vcc, s[8:9], v[1:2]
	s_cbranch_vccnz .LBB0_164
; %bb.165:                              ;   in Loop: Header=BB0_1 Depth=1
	s_add_i32 s8, s4, 0x52
	s_mov_b32 s9, s5
	v_mov_b32_e32 v1, s8
	v_mov_b32_e32 v2, s9
	global_store_dwordx2 v0, v[1:2], s[2:3]
.LBB0_166:                              ;   Parent Loop BB0_1 Depth=1
                                        ; =>  This Inner Loop Header: Depth=2
	global_load_dwordx2 v[1:2], v0, s[0:1] glc
	s_waitcnt vmcnt(0)
	v_cmp_ne_u64_e32 vcc, s[8:9], v[1:2]
	s_cbranch_vccnz .LBB0_166
; %bb.167:                              ;   in Loop: Header=BB0_1 Depth=1
	s_add_i32 s8, s4, 0x53
	s_mov_b32 s9, s5
	v_mov_b32_e32 v1, s8
	v_mov_b32_e32 v2, s9
	global_store_dwordx2 v0, v[1:2], s[2:3]
.LBB0_168:                              ;   Parent Loop BB0_1 Depth=1
                                        ; =>  This Inner Loop Header: Depth=2
	global_load_dwordx2 v[1:2], v0, s[0:1] glc
	s_waitcnt vmcnt(0)
	v_cmp_ne_u64_e32 vcc, s[8:9], v[1:2]
	s_cbranch_vccnz .LBB0_168
; %bb.169:                              ;   in Loop: Header=BB0_1 Depth=1
	s_add_i32 s8, s4, 0x54
	s_mov_b32 s9, s5
	v_mov_b32_e32 v1, s8
	v_mov_b32_e32 v2, s9
	global_store_dwordx2 v0, v[1:2], s[2:3]
.LBB0_170:                              ;   Parent Loop BB0_1 Depth=1
                                        ; =>  This Inner Loop Header: Depth=2
	global_load_dwordx2 v[1:2], v0, s[0:1] glc
	s_waitcnt vmcnt(0)
	v_cmp_ne_u64_e32 vcc, s[8:9], v[1:2]
	s_cbranch_vccnz .LBB0_170
; %bb.171:                              ;   in Loop: Header=BB0_1 Depth=1
	s_add_i32 s8, s4, 0x55
	s_mov_b32 s9, s5
	v_mov_b32_e32 v1, s8
	v_mov_b32_e32 v2, s9
	global_store_dwordx2 v0, v[1:2], s[2:3]
.LBB0_172:                              ;   Parent Loop BB0_1 Depth=1
                                        ; =>  This Inner Loop Header: Depth=2
	global_load_dwordx2 v[1:2], v0, s[0:1] glc
	s_waitcnt vmcnt(0)
	v_cmp_ne_u64_e32 vcc, s[8:9], v[1:2]
	s_cbranch_vccnz .LBB0_172
; %bb.173:                              ;   in Loop: Header=BB0_1 Depth=1
	s_add_i32 s8, s4, 0x56
	s_mov_b32 s9, s5
	v_mov_b32_e32 v1, s8
	v_mov_b32_e32 v2, s9
	global_store_dwordx2 v0, v[1:2], s[2:3]
.LBB0_174:                              ;   Parent Loop BB0_1 Depth=1
                                        ; =>  This Inner Loop Header: Depth=2
	global_load_dwordx2 v[1:2], v0, s[0:1] glc
	s_waitcnt vmcnt(0)
	v_cmp_ne_u64_e32 vcc, s[8:9], v[1:2]
	s_cbranch_vccnz .LBB0_174
; %bb.175:                              ;   in Loop: Header=BB0_1 Depth=1
	s_add_i32 s8, s4, 0x57
	s_mov_b32 s9, s5
	v_mov_b32_e32 v1, s8
	v_mov_b32_e32 v2, s9
	global_store_dwordx2 v0, v[1:2], s[2:3]
.LBB0_176:                              ;   Parent Loop BB0_1 Depth=1
                                        ; =>  This Inner Loop Header: Depth=2
	global_load_dwordx2 v[1:2], v0, s[0:1] glc
	s_waitcnt vmcnt(0)
	v_cmp_ne_u64_e32 vcc, s[8:9], v[1:2]
	s_cbranch_vccnz .LBB0_176
; %bb.177:                              ;   in Loop: Header=BB0_1 Depth=1
	s_add_i32 s8, s4, 0x58
	s_mov_b32 s9, s5
	v_mov_b32_e32 v1, s8
	v_mov_b32_e32 v2, s9
	global_store_dwordx2 v0, v[1:2], s[2:3]
.LBB0_178:                              ;   Parent Loop BB0_1 Depth=1
                                        ; =>  This Inner Loop Header: Depth=2
	global_load_dwordx2 v[1:2], v0, s[0:1] glc
	s_waitcnt vmcnt(0)
	v_cmp_ne_u64_e32 vcc, s[8:9], v[1:2]
	s_cbranch_vccnz .LBB0_178
; %bb.179:                              ;   in Loop: Header=BB0_1 Depth=1
	s_add_i32 s8, s4, 0x59
	s_mov_b32 s9, s5
	v_mov_b32_e32 v1, s8
	v_mov_b32_e32 v2, s9
	global_store_dwordx2 v0, v[1:2], s[2:3]
.LBB0_180:                              ;   Parent Loop BB0_1 Depth=1
                                        ; =>  This Inner Loop Header: Depth=2
	global_load_dwordx2 v[1:2], v0, s[0:1] glc
	s_waitcnt vmcnt(0)
	v_cmp_ne_u64_e32 vcc, s[8:9], v[1:2]
	s_cbranch_vccnz .LBB0_180
; %bb.181:                              ;   in Loop: Header=BB0_1 Depth=1
	s_add_i32 s8, s4, 0x5a
	s_mov_b32 s9, s5
	v_mov_b32_e32 v1, s8
	v_mov_b32_e32 v2, s9
	global_store_dwordx2 v0, v[1:2], s[2:3]
.LBB0_182:                              ;   Parent Loop BB0_1 Depth=1
                                        ; =>  This Inner Loop Header: Depth=2
	global_load_dwordx2 v[1:2], v0, s[0:1] glc
	s_waitcnt vmcnt(0)
	v_cmp_ne_u64_e32 vcc, s[8:9], v[1:2]
	s_cbranch_vccnz .LBB0_182
; %bb.183:                              ;   in Loop: Header=BB0_1 Depth=1
	s_add_i32 s8, s4, 0x5b
	s_mov_b32 s9, s5
	v_mov_b32_e32 v1, s8
	v_mov_b32_e32 v2, s9
	global_store_dwordx2 v0, v[1:2], s[2:3]
.LBB0_184:                              ;   Parent Loop BB0_1 Depth=1
                                        ; =>  This Inner Loop Header: Depth=2
	global_load_dwordx2 v[1:2], v0, s[0:1] glc
	s_waitcnt vmcnt(0)
	v_cmp_ne_u64_e32 vcc, s[8:9], v[1:2]
	s_cbranch_vccnz .LBB0_184
; %bb.185:                              ;   in Loop: Header=BB0_1 Depth=1
	s_add_i32 s8, s4, 0x5c
	s_mov_b32 s9, s5
	v_mov_b32_e32 v1, s8
	v_mov_b32_e32 v2, s9
	global_store_dwordx2 v0, v[1:2], s[2:3]
.LBB0_186:                              ;   Parent Loop BB0_1 Depth=1
                                        ; =>  This Inner Loop Header: Depth=2
	global_load_dwordx2 v[1:2], v0, s[0:1] glc
	s_waitcnt vmcnt(0)
	v_cmp_ne_u64_e32 vcc, s[8:9], v[1:2]
	s_cbranch_vccnz .LBB0_186
; %bb.187:                              ;   in Loop: Header=BB0_1 Depth=1
	s_add_i32 s8, s4, 0x5d
	s_mov_b32 s9, s5
	v_mov_b32_e32 v1, s8
	v_mov_b32_e32 v2, s9
	global_store_dwordx2 v0, v[1:2], s[2:3]
.LBB0_188:                              ;   Parent Loop BB0_1 Depth=1
                                        ; =>  This Inner Loop Header: Depth=2
	global_load_dwordx2 v[1:2], v0, s[0:1] glc
	s_waitcnt vmcnt(0)
	v_cmp_ne_u64_e32 vcc, s[8:9], v[1:2]
	s_cbranch_vccnz .LBB0_188
; %bb.189:                              ;   in Loop: Header=BB0_1 Depth=1
	s_add_i32 s8, s4, 0x5e
	s_mov_b32 s9, s5
	v_mov_b32_e32 v1, s8
	v_mov_b32_e32 v2, s9
	global_store_dwordx2 v0, v[1:2], s[2:3]
.LBB0_190:                              ;   Parent Loop BB0_1 Depth=1
                                        ; =>  This Inner Loop Header: Depth=2
	global_load_dwordx2 v[1:2], v0, s[0:1] glc
	s_waitcnt vmcnt(0)
	v_cmp_ne_u64_e32 vcc, s[8:9], v[1:2]
	s_cbranch_vccnz .LBB0_190
; %bb.191:                              ;   in Loop: Header=BB0_1 Depth=1
	s_add_i32 s8, s4, 0x5f
	s_mov_b32 s9, s5
	v_mov_b32_e32 v1, s8
	v_mov_b32_e32 v2, s9
	global_store_dwordx2 v0, v[1:2], s[2:3]
.LBB0_192:                              ;   Parent Loop BB0_1 Depth=1
                                        ; =>  This Inner Loop Header: Depth=2
	global_load_dwordx2 v[1:2], v0, s[0:1] glc
	s_waitcnt vmcnt(0)
	v_cmp_ne_u64_e32 vcc, s[8:9], v[1:2]
	s_cbranch_vccnz .LBB0_192
; %bb.193:                              ;   in Loop: Header=BB0_1 Depth=1
	s_add_i32 s8, s4, 0x60
	s_mov_b32 s9, s5
	v_mov_b32_e32 v1, s8
	v_mov_b32_e32 v2, s9
	global_store_dwordx2 v0, v[1:2], s[2:3]
.LBB0_194:                              ;   Parent Loop BB0_1 Depth=1
                                        ; =>  This Inner Loop Header: Depth=2
	global_load_dwordx2 v[1:2], v0, s[0:1] glc
	s_waitcnt vmcnt(0)
	v_cmp_ne_u64_e32 vcc, s[8:9], v[1:2]
	s_cbranch_vccnz .LBB0_194
; %bb.195:                              ;   in Loop: Header=BB0_1 Depth=1
	s_add_i32 s8, s4, 0x61
	s_mov_b32 s9, s5
	v_mov_b32_e32 v1, s8
	v_mov_b32_e32 v2, s9
	global_store_dwordx2 v0, v[1:2], s[2:3]
.LBB0_196:                              ;   Parent Loop BB0_1 Depth=1
                                        ; =>  This Inner Loop Header: Depth=2
	global_load_dwordx2 v[1:2], v0, s[0:1] glc
	s_waitcnt vmcnt(0)
	v_cmp_ne_u64_e32 vcc, s[8:9], v[1:2]
	s_cbranch_vccnz .LBB0_196
; %bb.197:                              ;   in Loop: Header=BB0_1 Depth=1
	s_add_i32 s8, s4, 0x62
	s_mov_b32 s9, s5
	v_mov_b32_e32 v1, s8
	v_mov_b32_e32 v2, s9
	global_store_dwordx2 v0, v[1:2], s[2:3]
.LBB0_198:                              ;   Parent Loop BB0_1 Depth=1
                                        ; =>  This Inner Loop Header: Depth=2
	global_load_dwordx2 v[1:2], v0, s[0:1] glc
	s_waitcnt vmcnt(0)
	v_cmp_ne_u64_e32 vcc, s[8:9], v[1:2]
	s_cbranch_vccnz .LBB0_198
; %bb.199:                              ;   in Loop: Header=BB0_1 Depth=1
	s_add_i32 s8, s4, 0x63
	s_mov_b32 s9, s5
	v_mov_b32_e32 v1, s8
	v_mov_b32_e32 v2, s9
	global_store_dwordx2 v0, v[1:2], s[2:3]
.LBB0_200:                              ;   Parent Loop BB0_1 Depth=1
                                        ; =>  This Inner Loop Header: Depth=2
	global_load_dwordx2 v[1:2], v0, s[0:1] glc
	s_waitcnt vmcnt(0)
	v_cmp_ne_u64_e32 vcc, s[8:9], v[1:2]
	s_cbranch_vccnz .LBB0_200
; %bb.201:                              ;   in Loop: Header=BB0_1 Depth=1
	s_add_i32 s8, s4, 0x64
	s_mov_b32 s9, s5
	v_mov_b32_e32 v1, s8
	v_mov_b32_e32 v2, s9
	global_store_dwordx2 v0, v[1:2], s[2:3]
.LBB0_202:                              ;   Parent Loop BB0_1 Depth=1
                                        ; =>  This Inner Loop Header: Depth=2
	global_load_dwordx2 v[1:2], v0, s[0:1] glc
	s_waitcnt vmcnt(0)
	v_cmp_ne_u64_e32 vcc, s[8:9], v[1:2]
	s_cbranch_vccnz .LBB0_202
; %bb.203:                              ;   in Loop: Header=BB0_1 Depth=1
	s_add_i32 s8, s4, 0x65
	s_mov_b32 s9, s5
	v_mov_b32_e32 v1, s8
	v_mov_b32_e32 v2, s9
	global_store_dwordx2 v0, v[1:2], s[2:3]
.LBB0_204:                              ;   Parent Loop BB0_1 Depth=1
                                        ; =>  This Inner Loop Header: Depth=2
	global_load_dwordx2 v[1:2], v0, s[0:1] glc
	s_waitcnt vmcnt(0)
	v_cmp_ne_u64_e32 vcc, s[8:9], v[1:2]
	s_cbranch_vccnz .LBB0_204
; %bb.205:                              ;   in Loop: Header=BB0_1 Depth=1
	s_add_i32 s8, s4, 0x66
	s_mov_b32 s9, s5
	v_mov_b32_e32 v1, s8
	v_mov_b32_e32 v2, s9
	global_store_dwordx2 v0, v[1:2], s[2:3]
.LBB0_206:                              ;   Parent Loop BB0_1 Depth=1
                                        ; =>  This Inner Loop Header: Depth=2
	global_load_dwordx2 v[1:2], v0, s[0:1] glc
	s_waitcnt vmcnt(0)
	v_cmp_ne_u64_e32 vcc, s[8:9], v[1:2]
	s_cbranch_vccnz .LBB0_206
; %bb.207:                              ;   in Loop: Header=BB0_1 Depth=1
	s_add_i32 s8, s4, 0x67
	s_mov_b32 s9, s5
	v_mov_b32_e32 v1, s8
	v_mov_b32_e32 v2, s9
	global_store_dwordx2 v0, v[1:2], s[2:3]
.LBB0_208:                              ;   Parent Loop BB0_1 Depth=1
                                        ; =>  This Inner Loop Header: Depth=2
	global_load_dwordx2 v[1:2], v0, s[0:1] glc
	s_waitcnt vmcnt(0)
	v_cmp_ne_u64_e32 vcc, s[8:9], v[1:2]
	s_cbranch_vccnz .LBB0_208
; %bb.209:                              ;   in Loop: Header=BB0_1 Depth=1
	s_add_i32 s8, s4, 0x68
	s_mov_b32 s9, s5
	v_mov_b32_e32 v1, s8
	v_mov_b32_e32 v2, s9
	global_store_dwordx2 v0, v[1:2], s[2:3]
.LBB0_210:                              ;   Parent Loop BB0_1 Depth=1
                                        ; =>  This Inner Loop Header: Depth=2
	global_load_dwordx2 v[1:2], v0, s[0:1] glc
	s_waitcnt vmcnt(0)
	v_cmp_ne_u64_e32 vcc, s[8:9], v[1:2]
	s_cbranch_vccnz .LBB0_210
; %bb.211:                              ;   in Loop: Header=BB0_1 Depth=1
	s_add_i32 s8, s4, 0x69
	s_mov_b32 s9, s5
	v_mov_b32_e32 v1, s8
	v_mov_b32_e32 v2, s9
	global_store_dwordx2 v0, v[1:2], s[2:3]
.LBB0_212:                              ;   Parent Loop BB0_1 Depth=1
                                        ; =>  This Inner Loop Header: Depth=2
	global_load_dwordx2 v[1:2], v0, s[0:1] glc
	s_waitcnt vmcnt(0)
	v_cmp_ne_u64_e32 vcc, s[8:9], v[1:2]
	s_cbranch_vccnz .LBB0_212
; %bb.213:                              ;   in Loop: Header=BB0_1 Depth=1
	s_add_i32 s8, s4, 0x6a
	s_mov_b32 s9, s5
	v_mov_b32_e32 v1, s8
	v_mov_b32_e32 v2, s9
	global_store_dwordx2 v0, v[1:2], s[2:3]
.LBB0_214:                              ;   Parent Loop BB0_1 Depth=1
                                        ; =>  This Inner Loop Header: Depth=2
	global_load_dwordx2 v[1:2], v0, s[0:1] glc
	s_waitcnt vmcnt(0)
	v_cmp_ne_u64_e32 vcc, s[8:9], v[1:2]
	s_cbranch_vccnz .LBB0_214
; %bb.215:                              ;   in Loop: Header=BB0_1 Depth=1
	s_add_i32 s8, s4, 0x6b
	s_mov_b32 s9, s5
	v_mov_b32_e32 v1, s8
	v_mov_b32_e32 v2, s9
	global_store_dwordx2 v0, v[1:2], s[2:3]
.LBB0_216:                              ;   Parent Loop BB0_1 Depth=1
                                        ; =>  This Inner Loop Header: Depth=2
	global_load_dwordx2 v[1:2], v0, s[0:1] glc
	s_waitcnt vmcnt(0)
	v_cmp_ne_u64_e32 vcc, s[8:9], v[1:2]
	s_cbranch_vccnz .LBB0_216
; %bb.217:                              ;   in Loop: Header=BB0_1 Depth=1
	s_add_i32 s8, s4, 0x6c
	s_mov_b32 s9, s5
	v_mov_b32_e32 v1, s8
	v_mov_b32_e32 v2, s9
	global_store_dwordx2 v0, v[1:2], s[2:3]
.LBB0_218:                              ;   Parent Loop BB0_1 Depth=1
                                        ; =>  This Inner Loop Header: Depth=2
	global_load_dwordx2 v[1:2], v0, s[0:1] glc
	s_waitcnt vmcnt(0)
	v_cmp_ne_u64_e32 vcc, s[8:9], v[1:2]
	s_cbranch_vccnz .LBB0_218
; %bb.219:                              ;   in Loop: Header=BB0_1 Depth=1
	s_add_i32 s8, s4, 0x6d
	s_mov_b32 s9, s5
	v_mov_b32_e32 v1, s8
	v_mov_b32_e32 v2, s9
	global_store_dwordx2 v0, v[1:2], s[2:3]
.LBB0_220:                              ;   Parent Loop BB0_1 Depth=1
                                        ; =>  This Inner Loop Header: Depth=2
	global_load_dwordx2 v[1:2], v0, s[0:1] glc
	s_waitcnt vmcnt(0)
	v_cmp_ne_u64_e32 vcc, s[8:9], v[1:2]
	s_cbranch_vccnz .LBB0_220
; %bb.221:                              ;   in Loop: Header=BB0_1 Depth=1
	s_add_i32 s8, s4, 0x6e
	s_mov_b32 s9, s5
	v_mov_b32_e32 v1, s8
	v_mov_b32_e32 v2, s9
	global_store_dwordx2 v0, v[1:2], s[2:3]
.LBB0_222:                              ;   Parent Loop BB0_1 Depth=1
                                        ; =>  This Inner Loop Header: Depth=2
	global_load_dwordx2 v[1:2], v0, s[0:1] glc
	s_waitcnt vmcnt(0)
	v_cmp_ne_u64_e32 vcc, s[8:9], v[1:2]
	s_cbranch_vccnz .LBB0_222
; %bb.223:                              ;   in Loop: Header=BB0_1 Depth=1
	s_add_i32 s8, s4, 0x6f
	s_mov_b32 s9, s5
	v_mov_b32_e32 v1, s8
	v_mov_b32_e32 v2, s9
	global_store_dwordx2 v0, v[1:2], s[2:3]
.LBB0_224:                              ;   Parent Loop BB0_1 Depth=1
                                        ; =>  This Inner Loop Header: Depth=2
	global_load_dwordx2 v[1:2], v0, s[0:1] glc
	s_waitcnt vmcnt(0)
	v_cmp_ne_u64_e32 vcc, s[8:9], v[1:2]
	s_cbranch_vccnz .LBB0_224
; %bb.225:                              ;   in Loop: Header=BB0_1 Depth=1
	s_add_i32 s8, s4, 0x70
	s_mov_b32 s9, s5
	v_mov_b32_e32 v1, s8
	v_mov_b32_e32 v2, s9
	global_store_dwordx2 v0, v[1:2], s[2:3]
.LBB0_226:                              ;   Parent Loop BB0_1 Depth=1
                                        ; =>  This Inner Loop Header: Depth=2
	global_load_dwordx2 v[1:2], v0, s[0:1] glc
	s_waitcnt vmcnt(0)
	v_cmp_ne_u64_e32 vcc, s[8:9], v[1:2]
	s_cbranch_vccnz .LBB0_226
; %bb.227:                              ;   in Loop: Header=BB0_1 Depth=1
	s_add_i32 s8, s4, 0x71
	s_mov_b32 s9, s5
	v_mov_b32_e32 v1, s8
	v_mov_b32_e32 v2, s9
	global_store_dwordx2 v0, v[1:2], s[2:3]
.LBB0_228:                              ;   Parent Loop BB0_1 Depth=1
                                        ; =>  This Inner Loop Header: Depth=2
	global_load_dwordx2 v[1:2], v0, s[0:1] glc
	s_waitcnt vmcnt(0)
	v_cmp_ne_u64_e32 vcc, s[8:9], v[1:2]
	s_cbranch_vccnz .LBB0_228
; %bb.229:                              ;   in Loop: Header=BB0_1 Depth=1
	s_add_i32 s8, s4, 0x72
	s_mov_b32 s9, s5
	v_mov_b32_e32 v1, s8
	v_mov_b32_e32 v2, s9
	global_store_dwordx2 v0, v[1:2], s[2:3]
.LBB0_230:                              ;   Parent Loop BB0_1 Depth=1
                                        ; =>  This Inner Loop Header: Depth=2
	global_load_dwordx2 v[1:2], v0, s[0:1] glc
	s_waitcnt vmcnt(0)
	v_cmp_ne_u64_e32 vcc, s[8:9], v[1:2]
	s_cbranch_vccnz .LBB0_230
; %bb.231:                              ;   in Loop: Header=BB0_1 Depth=1
	s_add_i32 s8, s4, 0x73
	s_mov_b32 s9, s5
	v_mov_b32_e32 v1, s8
	v_mov_b32_e32 v2, s9
	global_store_dwordx2 v0, v[1:2], s[2:3]
.LBB0_232:                              ;   Parent Loop BB0_1 Depth=1
                                        ; =>  This Inner Loop Header: Depth=2
	global_load_dwordx2 v[1:2], v0, s[0:1] glc
	s_waitcnt vmcnt(0)
	v_cmp_ne_u64_e32 vcc, s[8:9], v[1:2]
	s_cbranch_vccnz .LBB0_232
; %bb.233:                              ;   in Loop: Header=BB0_1 Depth=1
	s_add_i32 s8, s4, 0x74
	s_mov_b32 s9, s5
	v_mov_b32_e32 v1, s8
	v_mov_b32_e32 v2, s9
	global_store_dwordx2 v0, v[1:2], s[2:3]
.LBB0_234:                              ;   Parent Loop BB0_1 Depth=1
                                        ; =>  This Inner Loop Header: Depth=2
	global_load_dwordx2 v[1:2], v0, s[0:1] glc
	s_waitcnt vmcnt(0)
	v_cmp_ne_u64_e32 vcc, s[8:9], v[1:2]
	s_cbranch_vccnz .LBB0_234
; %bb.235:                              ;   in Loop: Header=BB0_1 Depth=1
	s_add_i32 s8, s4, 0x75
	s_mov_b32 s9, s5
	v_mov_b32_e32 v1, s8
	v_mov_b32_e32 v2, s9
	global_store_dwordx2 v0, v[1:2], s[2:3]
.LBB0_236:                              ;   Parent Loop BB0_1 Depth=1
                                        ; =>  This Inner Loop Header: Depth=2
	global_load_dwordx2 v[1:2], v0, s[0:1] glc
	s_waitcnt vmcnt(0)
	v_cmp_ne_u64_e32 vcc, s[8:9], v[1:2]
	s_cbranch_vccnz .LBB0_236
; %bb.237:                              ;   in Loop: Header=BB0_1 Depth=1
	s_add_i32 s8, s4, 0x76
	s_mov_b32 s9, s5
	v_mov_b32_e32 v1, s8
	v_mov_b32_e32 v2, s9
	global_store_dwordx2 v0, v[1:2], s[2:3]
.LBB0_238:                              ;   Parent Loop BB0_1 Depth=1
                                        ; =>  This Inner Loop Header: Depth=2
	global_load_dwordx2 v[1:2], v0, s[0:1] glc
	s_waitcnt vmcnt(0)
	v_cmp_ne_u64_e32 vcc, s[8:9], v[1:2]
	s_cbranch_vccnz .LBB0_238
; %bb.239:                              ;   in Loop: Header=BB0_1 Depth=1
	s_add_i32 s8, s4, 0x77
	s_mov_b32 s9, s5
	v_mov_b32_e32 v1, s8
	v_mov_b32_e32 v2, s9
	global_store_dwordx2 v0, v[1:2], s[2:3]
.LBB0_240:                              ;   Parent Loop BB0_1 Depth=1
                                        ; =>  This Inner Loop Header: Depth=2
	global_load_dwordx2 v[1:2], v0, s[0:1] glc
	s_waitcnt vmcnt(0)
	v_cmp_ne_u64_e32 vcc, s[8:9], v[1:2]
	s_cbranch_vccnz .LBB0_240
; %bb.241:                              ;   in Loop: Header=BB0_1 Depth=1
	s_add_i32 s8, s4, 0x78
	s_mov_b32 s9, s5
	v_mov_b32_e32 v1, s8
	v_mov_b32_e32 v2, s9
	global_store_dwordx2 v0, v[1:2], s[2:3]
.LBB0_242:                              ;   Parent Loop BB0_1 Depth=1
                                        ; =>  This Inner Loop Header: Depth=2
	global_load_dwordx2 v[1:2], v0, s[0:1] glc
	s_waitcnt vmcnt(0)
	v_cmp_ne_u64_e32 vcc, s[8:9], v[1:2]
	s_cbranch_vccnz .LBB0_242
; %bb.243:                              ;   in Loop: Header=BB0_1 Depth=1
	s_add_i32 s8, s4, 0x79
	s_mov_b32 s9, s5
	v_mov_b32_e32 v1, s8
	v_mov_b32_e32 v2, s9
	global_store_dwordx2 v0, v[1:2], s[2:3]
.LBB0_244:                              ;   Parent Loop BB0_1 Depth=1
                                        ; =>  This Inner Loop Header: Depth=2
	global_load_dwordx2 v[1:2], v0, s[0:1] glc
	s_waitcnt vmcnt(0)
	v_cmp_ne_u64_e32 vcc, s[8:9], v[1:2]
	s_cbranch_vccnz .LBB0_244
; %bb.245:                              ;   in Loop: Header=BB0_1 Depth=1
	s_add_i32 s8, s4, 0x7a
	s_mov_b32 s9, s5
	v_mov_b32_e32 v1, s8
	v_mov_b32_e32 v2, s9
	global_store_dwordx2 v0, v[1:2], s[2:3]
.LBB0_246:                              ;   Parent Loop BB0_1 Depth=1
                                        ; =>  This Inner Loop Header: Depth=2
	global_load_dwordx2 v[1:2], v0, s[0:1] glc
	s_waitcnt vmcnt(0)
	v_cmp_ne_u64_e32 vcc, s[8:9], v[1:2]
	s_cbranch_vccnz .LBB0_246
; %bb.247:                              ;   in Loop: Header=BB0_1 Depth=1
	s_add_i32 s8, s4, 0x7b
	s_mov_b32 s9, s5
	v_mov_b32_e32 v1, s8
	v_mov_b32_e32 v2, s9
	global_store_dwordx2 v0, v[1:2], s[2:3]
.LBB0_248:                              ;   Parent Loop BB0_1 Depth=1
                                        ; =>  This Inner Loop Header: Depth=2
	global_load_dwordx2 v[1:2], v0, s[0:1] glc
	s_waitcnt vmcnt(0)
	v_cmp_ne_u64_e32 vcc, s[8:9], v[1:2]
	s_cbranch_vccnz .LBB0_248
; %bb.249:                              ;   in Loop: Header=BB0_1 Depth=1
	s_add_i32 s8, s4, 0x7c
	s_mov_b32 s9, s5
	v_mov_b32_e32 v1, s8
	v_mov_b32_e32 v2, s9
	global_store_dwordx2 v0, v[1:2], s[2:3]
.LBB0_250:                              ;   Parent Loop BB0_1 Depth=1
                                        ; =>  This Inner Loop Header: Depth=2
	global_load_dwordx2 v[1:2], v0, s[0:1] glc
	s_waitcnt vmcnt(0)
	v_cmp_ne_u64_e32 vcc, s[8:9], v[1:2]
	s_cbranch_vccnz .LBB0_250
; %bb.251:                              ;   in Loop: Header=BB0_1 Depth=1
	s_add_i32 s8, s4, 0x7d
	s_mov_b32 s9, s5
	v_mov_b32_e32 v1, s8
	v_mov_b32_e32 v2, s9
	global_store_dwordx2 v0, v[1:2], s[2:3]
.LBB0_252:                              ;   Parent Loop BB0_1 Depth=1
                                        ; =>  This Inner Loop Header: Depth=2
	global_load_dwordx2 v[1:2], v0, s[0:1] glc
	s_waitcnt vmcnt(0)
	v_cmp_ne_u64_e32 vcc, s[8:9], v[1:2]
	s_cbranch_vccnz .LBB0_252
; %bb.253:                              ;   in Loop: Header=BB0_1 Depth=1
	s_add_i32 s8, s4, 0x7e
	s_mov_b32 s9, s5
	v_mov_b32_e32 v1, s8
	v_mov_b32_e32 v2, s9
	global_store_dwordx2 v0, v[1:2], s[2:3]
.LBB0_254:                              ;   Parent Loop BB0_1 Depth=1
                                        ; =>  This Inner Loop Header: Depth=2
	global_load_dwordx2 v[1:2], v0, s[0:1] glc
	s_waitcnt vmcnt(0)
	v_cmp_ne_u64_e32 vcc, s[8:9], v[1:2]
	s_cbranch_vccnz .LBB0_254
; %bb.255:                              ;   in Loop: Header=BB0_1 Depth=1
	s_add_i32 s8, s4, 0x7f
	s_mov_b32 s9, s5
	v_mov_b32_e32 v1, s8
	v_mov_b32_e32 v2, s9
	global_store_dwordx2 v0, v[1:2], s[2:3]
.LBB0_256:                              ;   Parent Loop BB0_1 Depth=1
                                        ; =>  This Inner Loop Header: Depth=2
	global_load_dwordx2 v[1:2], v0, s[0:1] glc
	s_waitcnt vmcnt(0)
	v_cmp_ne_u64_e32 vcc, s[8:9], v[1:2]
	s_cbranch_vccnz .LBB0_256
; %bb.257:                              ;   in Loop: Header=BB0_1 Depth=1
	s_add_i32 s8, s4, 0x80
	s_mov_b32 s9, s5
	v_mov_b32_e32 v1, s8
	v_mov_b32_e32 v2, s9
	global_store_dwordx2 v0, v[1:2], s[2:3]
.LBB0_258:                              ;   Parent Loop BB0_1 Depth=1
                                        ; =>  This Inner Loop Header: Depth=2
	global_load_dwordx2 v[1:2], v0, s[0:1] glc
	s_waitcnt vmcnt(0)
	v_cmp_ne_u64_e32 vcc, s[8:9], v[1:2]
	s_cbranch_vccnz .LBB0_258
; %bb.259:                              ;   in Loop: Header=BB0_1 Depth=1
	s_add_i32 s8, s4, 0x81
	s_mov_b32 s9, s5
	v_mov_b32_e32 v1, s8
	v_mov_b32_e32 v2, s9
	global_store_dwordx2 v0, v[1:2], s[2:3]
.LBB0_260:                              ;   Parent Loop BB0_1 Depth=1
                                        ; =>  This Inner Loop Header: Depth=2
	global_load_dwordx2 v[1:2], v0, s[0:1] glc
	s_waitcnt vmcnt(0)
	v_cmp_ne_u64_e32 vcc, s[8:9], v[1:2]
	s_cbranch_vccnz .LBB0_260
; %bb.261:                              ;   in Loop: Header=BB0_1 Depth=1
	s_add_i32 s8, s4, 0x82
	s_mov_b32 s9, s5
	v_mov_b32_e32 v1, s8
	v_mov_b32_e32 v2, s9
	global_store_dwordx2 v0, v[1:2], s[2:3]
.LBB0_262:                              ;   Parent Loop BB0_1 Depth=1
                                        ; =>  This Inner Loop Header: Depth=2
	global_load_dwordx2 v[1:2], v0, s[0:1] glc
	s_waitcnt vmcnt(0)
	v_cmp_ne_u64_e32 vcc, s[8:9], v[1:2]
	s_cbranch_vccnz .LBB0_262
; %bb.263:                              ;   in Loop: Header=BB0_1 Depth=1
	s_add_i32 s8, s4, 0x83
	s_mov_b32 s9, s5
	v_mov_b32_e32 v1, s8
	v_mov_b32_e32 v2, s9
	global_store_dwordx2 v0, v[1:2], s[2:3]
.LBB0_264:                              ;   Parent Loop BB0_1 Depth=1
                                        ; =>  This Inner Loop Header: Depth=2
	global_load_dwordx2 v[1:2], v0, s[0:1] glc
	s_waitcnt vmcnt(0)
	v_cmp_ne_u64_e32 vcc, s[8:9], v[1:2]
	s_cbranch_vccnz .LBB0_264
; %bb.265:                              ;   in Loop: Header=BB0_1 Depth=1
	s_add_i32 s8, s4, 0x84
	s_mov_b32 s9, s5
	v_mov_b32_e32 v1, s8
	v_mov_b32_e32 v2, s9
	global_store_dwordx2 v0, v[1:2], s[2:3]
.LBB0_266:                              ;   Parent Loop BB0_1 Depth=1
                                        ; =>  This Inner Loop Header: Depth=2
	global_load_dwordx2 v[1:2], v0, s[0:1] glc
	s_waitcnt vmcnt(0)
	v_cmp_ne_u64_e32 vcc, s[8:9], v[1:2]
	s_cbranch_vccnz .LBB0_266
; %bb.267:                              ;   in Loop: Header=BB0_1 Depth=1
	s_add_i32 s8, s4, 0x85
	s_mov_b32 s9, s5
	v_mov_b32_e32 v1, s8
	v_mov_b32_e32 v2, s9
	global_store_dwordx2 v0, v[1:2], s[2:3]
.LBB0_268:                              ;   Parent Loop BB0_1 Depth=1
                                        ; =>  This Inner Loop Header: Depth=2
	global_load_dwordx2 v[1:2], v0, s[0:1] glc
	s_waitcnt vmcnt(0)
	v_cmp_ne_u64_e32 vcc, s[8:9], v[1:2]
	s_cbranch_vccnz .LBB0_268
; %bb.269:                              ;   in Loop: Header=BB0_1 Depth=1
	s_add_i32 s8, s4, 0x86
	s_mov_b32 s9, s5
	v_mov_b32_e32 v1, s8
	v_mov_b32_e32 v2, s9
	global_store_dwordx2 v0, v[1:2], s[2:3]
.LBB0_270:                              ;   Parent Loop BB0_1 Depth=1
                                        ; =>  This Inner Loop Header: Depth=2
	global_load_dwordx2 v[1:2], v0, s[0:1] glc
	s_waitcnt vmcnt(0)
	v_cmp_ne_u64_e32 vcc, s[8:9], v[1:2]
	s_cbranch_vccnz .LBB0_270
; %bb.271:                              ;   in Loop: Header=BB0_1 Depth=1
	s_add_i32 s8, s4, 0x87
	s_mov_b32 s9, s5
	v_mov_b32_e32 v1, s8
	v_mov_b32_e32 v2, s9
	global_store_dwordx2 v0, v[1:2], s[2:3]
.LBB0_272:                              ;   Parent Loop BB0_1 Depth=1
                                        ; =>  This Inner Loop Header: Depth=2
	global_load_dwordx2 v[1:2], v0, s[0:1] glc
	s_waitcnt vmcnt(0)
	v_cmp_ne_u64_e32 vcc, s[8:9], v[1:2]
	s_cbranch_vccnz .LBB0_272
; %bb.273:                              ;   in Loop: Header=BB0_1 Depth=1
	s_add_i32 s8, s4, 0x88
	s_mov_b32 s9, s5
	v_mov_b32_e32 v1, s8
	v_mov_b32_e32 v2, s9
	global_store_dwordx2 v0, v[1:2], s[2:3]
.LBB0_274:                              ;   Parent Loop BB0_1 Depth=1
                                        ; =>  This Inner Loop Header: Depth=2
	global_load_dwordx2 v[1:2], v0, s[0:1] glc
	s_waitcnt vmcnt(0)
	v_cmp_ne_u64_e32 vcc, s[8:9], v[1:2]
	s_cbranch_vccnz .LBB0_274
; %bb.275:                              ;   in Loop: Header=BB0_1 Depth=1
	s_add_i32 s8, s4, 0x89
	s_mov_b32 s9, s5
	v_mov_b32_e32 v1, s8
	v_mov_b32_e32 v2, s9
	global_store_dwordx2 v0, v[1:2], s[2:3]
.LBB0_276:                              ;   Parent Loop BB0_1 Depth=1
                                        ; =>  This Inner Loop Header: Depth=2
	global_load_dwordx2 v[1:2], v0, s[0:1] glc
	s_waitcnt vmcnt(0)
	v_cmp_ne_u64_e32 vcc, s[8:9], v[1:2]
	s_cbranch_vccnz .LBB0_276
; %bb.277:                              ;   in Loop: Header=BB0_1 Depth=1
	s_add_i32 s8, s4, 0x8a
	s_mov_b32 s9, s5
	v_mov_b32_e32 v1, s8
	v_mov_b32_e32 v2, s9
	global_store_dwordx2 v0, v[1:2], s[2:3]
.LBB0_278:                              ;   Parent Loop BB0_1 Depth=1
                                        ; =>  This Inner Loop Header: Depth=2
	global_load_dwordx2 v[1:2], v0, s[0:1] glc
	s_waitcnt vmcnt(0)
	v_cmp_ne_u64_e32 vcc, s[8:9], v[1:2]
	s_cbranch_vccnz .LBB0_278
; %bb.279:                              ;   in Loop: Header=BB0_1 Depth=1
	s_add_i32 s8, s4, 0x8b
	s_mov_b32 s9, s5
	v_mov_b32_e32 v1, s8
	v_mov_b32_e32 v2, s9
	global_store_dwordx2 v0, v[1:2], s[2:3]
.LBB0_280:                              ;   Parent Loop BB0_1 Depth=1
                                        ; =>  This Inner Loop Header: Depth=2
	global_load_dwordx2 v[1:2], v0, s[0:1] glc
	s_waitcnt vmcnt(0)
	v_cmp_ne_u64_e32 vcc, s[8:9], v[1:2]
	s_cbranch_vccnz .LBB0_280
; %bb.281:                              ;   in Loop: Header=BB0_1 Depth=1
	s_add_i32 s8, s4, 0x8c
	s_mov_b32 s9, s5
	v_mov_b32_e32 v1, s8
	v_mov_b32_e32 v2, s9
	global_store_dwordx2 v0, v[1:2], s[2:3]
.LBB0_282:                              ;   Parent Loop BB0_1 Depth=1
                                        ; =>  This Inner Loop Header: Depth=2
	global_load_dwordx2 v[1:2], v0, s[0:1] glc
	s_waitcnt vmcnt(0)
	v_cmp_ne_u64_e32 vcc, s[8:9], v[1:2]
	s_cbranch_vccnz .LBB0_282
; %bb.283:                              ;   in Loop: Header=BB0_1 Depth=1
	s_add_i32 s8, s4, 0x8d
	s_mov_b32 s9, s5
	v_mov_b32_e32 v1, s8
	v_mov_b32_e32 v2, s9
	global_store_dwordx2 v0, v[1:2], s[2:3]
.LBB0_284:                              ;   Parent Loop BB0_1 Depth=1
                                        ; =>  This Inner Loop Header: Depth=2
	global_load_dwordx2 v[1:2], v0, s[0:1] glc
	s_waitcnt vmcnt(0)
	v_cmp_ne_u64_e32 vcc, s[8:9], v[1:2]
	s_cbranch_vccnz .LBB0_284
; %bb.285:                              ;   in Loop: Header=BB0_1 Depth=1
	s_add_i32 s8, s4, 0x8e
	s_mov_b32 s9, s5
	v_mov_b32_e32 v1, s8
	v_mov_b32_e32 v2, s9
	global_store_dwordx2 v0, v[1:2], s[2:3]
.LBB0_286:                              ;   Parent Loop BB0_1 Depth=1
                                        ; =>  This Inner Loop Header: Depth=2
	global_load_dwordx2 v[1:2], v0, s[0:1] glc
	s_waitcnt vmcnt(0)
	v_cmp_ne_u64_e32 vcc, s[8:9], v[1:2]
	s_cbranch_vccnz .LBB0_286
; %bb.287:                              ;   in Loop: Header=BB0_1 Depth=1
	s_add_i32 s8, s4, 0x8f
	s_mov_b32 s9, s5
	v_mov_b32_e32 v1, s8
	v_mov_b32_e32 v2, s9
	global_store_dwordx2 v0, v[1:2], s[2:3]
.LBB0_288:                              ;   Parent Loop BB0_1 Depth=1
                                        ; =>  This Inner Loop Header: Depth=2
	global_load_dwordx2 v[1:2], v0, s[0:1] glc
	s_waitcnt vmcnt(0)
	v_cmp_ne_u64_e32 vcc, s[8:9], v[1:2]
	s_cbranch_vccnz .LBB0_288
; %bb.289:                              ;   in Loop: Header=BB0_1 Depth=1
	s_add_i32 s8, s4, 0x90
	s_mov_b32 s9, s5
	v_mov_b32_e32 v1, s8
	v_mov_b32_e32 v2, s9
	global_store_dwordx2 v0, v[1:2], s[2:3]
.LBB0_290:                              ;   Parent Loop BB0_1 Depth=1
                                        ; =>  This Inner Loop Header: Depth=2
	global_load_dwordx2 v[1:2], v0, s[0:1] glc
	s_waitcnt vmcnt(0)
	v_cmp_ne_u64_e32 vcc, s[8:9], v[1:2]
	s_cbranch_vccnz .LBB0_290
; %bb.291:                              ;   in Loop: Header=BB0_1 Depth=1
	s_add_i32 s8, s4, 0x91
	s_mov_b32 s9, s5
	v_mov_b32_e32 v1, s8
	v_mov_b32_e32 v2, s9
	global_store_dwordx2 v0, v[1:2], s[2:3]
.LBB0_292:                              ;   Parent Loop BB0_1 Depth=1
                                        ; =>  This Inner Loop Header: Depth=2
	global_load_dwordx2 v[1:2], v0, s[0:1] glc
	s_waitcnt vmcnt(0)
	v_cmp_ne_u64_e32 vcc, s[8:9], v[1:2]
	s_cbranch_vccnz .LBB0_292
; %bb.293:                              ;   in Loop: Header=BB0_1 Depth=1
	s_add_i32 s8, s4, 0x92
	s_mov_b32 s9, s5
	v_mov_b32_e32 v1, s8
	v_mov_b32_e32 v2, s9
	global_store_dwordx2 v0, v[1:2], s[2:3]
.LBB0_294:                              ;   Parent Loop BB0_1 Depth=1
                                        ; =>  This Inner Loop Header: Depth=2
	global_load_dwordx2 v[1:2], v0, s[0:1] glc
	s_waitcnt vmcnt(0)
	v_cmp_ne_u64_e32 vcc, s[8:9], v[1:2]
	s_cbranch_vccnz .LBB0_294
; %bb.295:                              ;   in Loop: Header=BB0_1 Depth=1
	s_add_i32 s8, s4, 0x93
	s_mov_b32 s9, s5
	v_mov_b32_e32 v1, s8
	v_mov_b32_e32 v2, s9
	global_store_dwordx2 v0, v[1:2], s[2:3]
.LBB0_296:                              ;   Parent Loop BB0_1 Depth=1
                                        ; =>  This Inner Loop Header: Depth=2
	global_load_dwordx2 v[1:2], v0, s[0:1] glc
	s_waitcnt vmcnt(0)
	v_cmp_ne_u64_e32 vcc, s[8:9], v[1:2]
	s_cbranch_vccnz .LBB0_296
; %bb.297:                              ;   in Loop: Header=BB0_1 Depth=1
	s_add_i32 s8, s4, 0x94
	s_mov_b32 s9, s5
	v_mov_b32_e32 v1, s8
	v_mov_b32_e32 v2, s9
	global_store_dwordx2 v0, v[1:2], s[2:3]
.LBB0_298:                              ;   Parent Loop BB0_1 Depth=1
                                        ; =>  This Inner Loop Header: Depth=2
	global_load_dwordx2 v[1:2], v0, s[0:1] glc
	s_waitcnt vmcnt(0)
	v_cmp_ne_u64_e32 vcc, s[8:9], v[1:2]
	s_cbranch_vccnz .LBB0_298
; %bb.299:                              ;   in Loop: Header=BB0_1 Depth=1
	s_add_i32 s8, s4, 0x95
	s_mov_b32 s9, s5
	v_mov_b32_e32 v1, s8
	v_mov_b32_e32 v2, s9
	global_store_dwordx2 v0, v[1:2], s[2:3]
.LBB0_300:                              ;   Parent Loop BB0_1 Depth=1
                                        ; =>  This Inner Loop Header: Depth=2
	global_load_dwordx2 v[1:2], v0, s[0:1] glc
	s_waitcnt vmcnt(0)
	v_cmp_ne_u64_e32 vcc, s[8:9], v[1:2]
	s_cbranch_vccnz .LBB0_300
; %bb.301:                              ;   in Loop: Header=BB0_1 Depth=1
	s_add_i32 s8, s4, 0x96
	s_mov_b32 s9, s5
	v_mov_b32_e32 v1, s8
	v_mov_b32_e32 v2, s9
	global_store_dwordx2 v0, v[1:2], s[2:3]
.LBB0_302:                              ;   Parent Loop BB0_1 Depth=1
                                        ; =>  This Inner Loop Header: Depth=2
	global_load_dwordx2 v[1:2], v0, s[0:1] glc
	s_waitcnt vmcnt(0)
	v_cmp_ne_u64_e32 vcc, s[8:9], v[1:2]
	s_cbranch_vccnz .LBB0_302
; %bb.303:                              ;   in Loop: Header=BB0_1 Depth=1
	s_add_i32 s8, s4, 0x97
	s_mov_b32 s9, s5
	v_mov_b32_e32 v1, s8
	v_mov_b32_e32 v2, s9
	global_store_dwordx2 v0, v[1:2], s[2:3]
.LBB0_304:                              ;   Parent Loop BB0_1 Depth=1
                                        ; =>  This Inner Loop Header: Depth=2
	global_load_dwordx2 v[1:2], v0, s[0:1] glc
	s_waitcnt vmcnt(0)
	v_cmp_ne_u64_e32 vcc, s[8:9], v[1:2]
	s_cbranch_vccnz .LBB0_304
; %bb.305:                              ;   in Loop: Header=BB0_1 Depth=1
	s_add_i32 s8, s4, 0x98
	s_mov_b32 s9, s5
	v_mov_b32_e32 v1, s8
	v_mov_b32_e32 v2, s9
	global_store_dwordx2 v0, v[1:2], s[2:3]
.LBB0_306:                              ;   Parent Loop BB0_1 Depth=1
                                        ; =>  This Inner Loop Header: Depth=2
	global_load_dwordx2 v[1:2], v0, s[0:1] glc
	s_waitcnt vmcnt(0)
	v_cmp_ne_u64_e32 vcc, s[8:9], v[1:2]
	s_cbranch_vccnz .LBB0_306
; %bb.307:                              ;   in Loop: Header=BB0_1 Depth=1
	s_add_i32 s8, s4, 0x99
	s_mov_b32 s9, s5
	v_mov_b32_e32 v1, s8
	v_mov_b32_e32 v2, s9
	global_store_dwordx2 v0, v[1:2], s[2:3]
.LBB0_308:                              ;   Parent Loop BB0_1 Depth=1
                                        ; =>  This Inner Loop Header: Depth=2
	global_load_dwordx2 v[1:2], v0, s[0:1] glc
	s_waitcnt vmcnt(0)
	v_cmp_ne_u64_e32 vcc, s[8:9], v[1:2]
	s_cbranch_vccnz .LBB0_308
; %bb.309:                              ;   in Loop: Header=BB0_1 Depth=1
	s_add_i32 s8, s4, 0x9a
	s_mov_b32 s9, s5
	v_mov_b32_e32 v1, s8
	v_mov_b32_e32 v2, s9
	global_store_dwordx2 v0, v[1:2], s[2:3]
.LBB0_310:                              ;   Parent Loop BB0_1 Depth=1
                                        ; =>  This Inner Loop Header: Depth=2
	global_load_dwordx2 v[1:2], v0, s[0:1] glc
	s_waitcnt vmcnt(0)
	v_cmp_ne_u64_e32 vcc, s[8:9], v[1:2]
	s_cbranch_vccnz .LBB0_310
; %bb.311:                              ;   in Loop: Header=BB0_1 Depth=1
	s_add_i32 s8, s4, 0x9b
	s_mov_b32 s9, s5
	v_mov_b32_e32 v1, s8
	v_mov_b32_e32 v2, s9
	global_store_dwordx2 v0, v[1:2], s[2:3]
.LBB0_312:                              ;   Parent Loop BB0_1 Depth=1
                                        ; =>  This Inner Loop Header: Depth=2
	global_load_dwordx2 v[1:2], v0, s[0:1] glc
	s_waitcnt vmcnt(0)
	v_cmp_ne_u64_e32 vcc, s[8:9], v[1:2]
	s_cbranch_vccnz .LBB0_312
; %bb.313:                              ;   in Loop: Header=BB0_1 Depth=1
	s_add_i32 s8, s4, 0x9c
	s_mov_b32 s9, s5
	v_mov_b32_e32 v1, s8
	v_mov_b32_e32 v2, s9
	global_store_dwordx2 v0, v[1:2], s[2:3]
.LBB0_314:                              ;   Parent Loop BB0_1 Depth=1
                                        ; =>  This Inner Loop Header: Depth=2
	global_load_dwordx2 v[1:2], v0, s[0:1] glc
	s_waitcnt vmcnt(0)
	v_cmp_ne_u64_e32 vcc, s[8:9], v[1:2]
	s_cbranch_vccnz .LBB0_314
; %bb.315:                              ;   in Loop: Header=BB0_1 Depth=1
	s_add_i32 s8, s4, 0x9d
	s_mov_b32 s9, s5
	v_mov_b32_e32 v1, s8
	v_mov_b32_e32 v2, s9
	global_store_dwordx2 v0, v[1:2], s[2:3]
.LBB0_316:                              ;   Parent Loop BB0_1 Depth=1
                                        ; =>  This Inner Loop Header: Depth=2
	global_load_dwordx2 v[1:2], v0, s[0:1] glc
	s_waitcnt vmcnt(0)
	v_cmp_ne_u64_e32 vcc, s[8:9], v[1:2]
	s_cbranch_vccnz .LBB0_316
; %bb.317:                              ;   in Loop: Header=BB0_1 Depth=1
	s_add_i32 s8, s4, 0x9e
	s_mov_b32 s9, s5
	v_mov_b32_e32 v1, s8
	v_mov_b32_e32 v2, s9
	global_store_dwordx2 v0, v[1:2], s[2:3]
.LBB0_318:                              ;   Parent Loop BB0_1 Depth=1
                                        ; =>  This Inner Loop Header: Depth=2
	global_load_dwordx2 v[1:2], v0, s[0:1] glc
	s_waitcnt vmcnt(0)
	v_cmp_ne_u64_e32 vcc, s[8:9], v[1:2]
	s_cbranch_vccnz .LBB0_318
; %bb.319:                              ;   in Loop: Header=BB0_1 Depth=1
	s_add_i32 s8, s4, 0x9f
	s_mov_b32 s9, s5
	v_mov_b32_e32 v1, s8
	v_mov_b32_e32 v2, s9
	global_store_dwordx2 v0, v[1:2], s[2:3]
.LBB0_320:                              ;   Parent Loop BB0_1 Depth=1
                                        ; =>  This Inner Loop Header: Depth=2
	global_load_dwordx2 v[1:2], v0, s[0:1] glc
	s_waitcnt vmcnt(0)
	v_cmp_ne_u64_e32 vcc, s[8:9], v[1:2]
	s_cbranch_vccnz .LBB0_320
; %bb.321:                              ;   in Loop: Header=BB0_1 Depth=1
	s_add_i32 s8, s4, 0xa0
	s_mov_b32 s9, s5
	v_mov_b32_e32 v1, s8
	v_mov_b32_e32 v2, s9
	global_store_dwordx2 v0, v[1:2], s[2:3]
.LBB0_322:                              ;   Parent Loop BB0_1 Depth=1
                                        ; =>  This Inner Loop Header: Depth=2
	global_load_dwordx2 v[1:2], v0, s[0:1] glc
	s_waitcnt vmcnt(0)
	v_cmp_ne_u64_e32 vcc, s[8:9], v[1:2]
	s_cbranch_vccnz .LBB0_322
; %bb.323:                              ;   in Loop: Header=BB0_1 Depth=1
	s_add_i32 s8, s4, 0xa1
	s_mov_b32 s9, s5
	v_mov_b32_e32 v1, s8
	v_mov_b32_e32 v2, s9
	global_store_dwordx2 v0, v[1:2], s[2:3]
.LBB0_324:                              ;   Parent Loop BB0_1 Depth=1
                                        ; =>  This Inner Loop Header: Depth=2
	global_load_dwordx2 v[1:2], v0, s[0:1] glc
	s_waitcnt vmcnt(0)
	v_cmp_ne_u64_e32 vcc, s[8:9], v[1:2]
	s_cbranch_vccnz .LBB0_324
; %bb.325:                              ;   in Loop: Header=BB0_1 Depth=1
	s_add_i32 s8, s4, 0xa2
	s_mov_b32 s9, s5
	v_mov_b32_e32 v1, s8
	v_mov_b32_e32 v2, s9
	global_store_dwordx2 v0, v[1:2], s[2:3]
.LBB0_326:                              ;   Parent Loop BB0_1 Depth=1
                                        ; =>  This Inner Loop Header: Depth=2
	global_load_dwordx2 v[1:2], v0, s[0:1] glc
	s_waitcnt vmcnt(0)
	v_cmp_ne_u64_e32 vcc, s[8:9], v[1:2]
	s_cbranch_vccnz .LBB0_326
; %bb.327:                              ;   in Loop: Header=BB0_1 Depth=1
	s_add_i32 s8, s4, 0xa3
	s_mov_b32 s9, s5
	v_mov_b32_e32 v1, s8
	v_mov_b32_e32 v2, s9
	global_store_dwordx2 v0, v[1:2], s[2:3]
.LBB0_328:                              ;   Parent Loop BB0_1 Depth=1
                                        ; =>  This Inner Loop Header: Depth=2
	global_load_dwordx2 v[1:2], v0, s[0:1] glc
	s_waitcnt vmcnt(0)
	v_cmp_ne_u64_e32 vcc, s[8:9], v[1:2]
	s_cbranch_vccnz .LBB0_328
; %bb.329:                              ;   in Loop: Header=BB0_1 Depth=1
	s_add_i32 s8, s4, 0xa4
	s_mov_b32 s9, s5
	v_mov_b32_e32 v1, s8
	v_mov_b32_e32 v2, s9
	global_store_dwordx2 v0, v[1:2], s[2:3]
.LBB0_330:                              ;   Parent Loop BB0_1 Depth=1
                                        ; =>  This Inner Loop Header: Depth=2
	global_load_dwordx2 v[1:2], v0, s[0:1] glc
	s_waitcnt vmcnt(0)
	v_cmp_ne_u64_e32 vcc, s[8:9], v[1:2]
	s_cbranch_vccnz .LBB0_330
; %bb.331:                              ;   in Loop: Header=BB0_1 Depth=1
	s_add_i32 s8, s4, 0xa5
	s_mov_b32 s9, s5
	v_mov_b32_e32 v1, s8
	v_mov_b32_e32 v2, s9
	global_store_dwordx2 v0, v[1:2], s[2:3]
.LBB0_332:                              ;   Parent Loop BB0_1 Depth=1
                                        ; =>  This Inner Loop Header: Depth=2
	global_load_dwordx2 v[1:2], v0, s[0:1] glc
	s_waitcnt vmcnt(0)
	v_cmp_ne_u64_e32 vcc, s[8:9], v[1:2]
	s_cbranch_vccnz .LBB0_332
; %bb.333:                              ;   in Loop: Header=BB0_1 Depth=1
	s_add_i32 s8, s4, 0xa6
	s_mov_b32 s9, s5
	v_mov_b32_e32 v1, s8
	v_mov_b32_e32 v2, s9
	global_store_dwordx2 v0, v[1:2], s[2:3]
.LBB0_334:                              ;   Parent Loop BB0_1 Depth=1
                                        ; =>  This Inner Loop Header: Depth=2
	global_load_dwordx2 v[1:2], v0, s[0:1] glc
	s_waitcnt vmcnt(0)
	v_cmp_ne_u64_e32 vcc, s[8:9], v[1:2]
	s_cbranch_vccnz .LBB0_334
; %bb.335:                              ;   in Loop: Header=BB0_1 Depth=1
	s_add_i32 s8, s4, 0xa7
	s_mov_b32 s9, s5
	v_mov_b32_e32 v1, s8
	v_mov_b32_e32 v2, s9
	global_store_dwordx2 v0, v[1:2], s[2:3]
.LBB0_336:                              ;   Parent Loop BB0_1 Depth=1
                                        ; =>  This Inner Loop Header: Depth=2
	global_load_dwordx2 v[1:2], v0, s[0:1] glc
	s_waitcnt vmcnt(0)
	v_cmp_ne_u64_e32 vcc, s[8:9], v[1:2]
	s_cbranch_vccnz .LBB0_336
; %bb.337:                              ;   in Loop: Header=BB0_1 Depth=1
	s_add_i32 s8, s4, 0xa8
	s_mov_b32 s9, s5
	v_mov_b32_e32 v1, s8
	v_mov_b32_e32 v2, s9
	global_store_dwordx2 v0, v[1:2], s[2:3]
.LBB0_338:                              ;   Parent Loop BB0_1 Depth=1
                                        ; =>  This Inner Loop Header: Depth=2
	global_load_dwordx2 v[1:2], v0, s[0:1] glc
	s_waitcnt vmcnt(0)
	v_cmp_ne_u64_e32 vcc, s[8:9], v[1:2]
	s_cbranch_vccnz .LBB0_338
; %bb.339:                              ;   in Loop: Header=BB0_1 Depth=1
	s_add_i32 s8, s4, 0xa9
	s_mov_b32 s9, s5
	v_mov_b32_e32 v1, s8
	v_mov_b32_e32 v2, s9
	global_store_dwordx2 v0, v[1:2], s[2:3]
.LBB0_340:                              ;   Parent Loop BB0_1 Depth=1
                                        ; =>  This Inner Loop Header: Depth=2
	global_load_dwordx2 v[1:2], v0, s[0:1] glc
	s_waitcnt vmcnt(0)
	v_cmp_ne_u64_e32 vcc, s[8:9], v[1:2]
	s_cbranch_vccnz .LBB0_340
; %bb.341:                              ;   in Loop: Header=BB0_1 Depth=1
	s_add_i32 s8, s4, 0xaa
	s_mov_b32 s9, s5
	v_mov_b32_e32 v1, s8
	v_mov_b32_e32 v2, s9
	global_store_dwordx2 v0, v[1:2], s[2:3]
.LBB0_342:                              ;   Parent Loop BB0_1 Depth=1
                                        ; =>  This Inner Loop Header: Depth=2
	global_load_dwordx2 v[1:2], v0, s[0:1] glc
	s_waitcnt vmcnt(0)
	v_cmp_ne_u64_e32 vcc, s[8:9], v[1:2]
	s_cbranch_vccnz .LBB0_342
; %bb.343:                              ;   in Loop: Header=BB0_1 Depth=1
	s_add_i32 s8, s4, 0xab
	s_mov_b32 s9, s5
	v_mov_b32_e32 v1, s8
	v_mov_b32_e32 v2, s9
	global_store_dwordx2 v0, v[1:2], s[2:3]
.LBB0_344:                              ;   Parent Loop BB0_1 Depth=1
                                        ; =>  This Inner Loop Header: Depth=2
	global_load_dwordx2 v[1:2], v0, s[0:1] glc
	s_waitcnt vmcnt(0)
	v_cmp_ne_u64_e32 vcc, s[8:9], v[1:2]
	s_cbranch_vccnz .LBB0_344
; %bb.345:                              ;   in Loop: Header=BB0_1 Depth=1
	s_add_i32 s8, s4, 0xac
	s_mov_b32 s9, s5
	v_mov_b32_e32 v1, s8
	v_mov_b32_e32 v2, s9
	global_store_dwordx2 v0, v[1:2], s[2:3]
.LBB0_346:                              ;   Parent Loop BB0_1 Depth=1
                                        ; =>  This Inner Loop Header: Depth=2
	global_load_dwordx2 v[1:2], v0, s[0:1] glc
	s_waitcnt vmcnt(0)
	v_cmp_ne_u64_e32 vcc, s[8:9], v[1:2]
	s_cbranch_vccnz .LBB0_346
; %bb.347:                              ;   in Loop: Header=BB0_1 Depth=1
	s_add_i32 s8, s4, 0xad
	s_mov_b32 s9, s5
	v_mov_b32_e32 v1, s8
	v_mov_b32_e32 v2, s9
	global_store_dwordx2 v0, v[1:2], s[2:3]
.LBB0_348:                              ;   Parent Loop BB0_1 Depth=1
                                        ; =>  This Inner Loop Header: Depth=2
	global_load_dwordx2 v[1:2], v0, s[0:1] glc
	s_waitcnt vmcnt(0)
	v_cmp_ne_u64_e32 vcc, s[8:9], v[1:2]
	s_cbranch_vccnz .LBB0_348
; %bb.349:                              ;   in Loop: Header=BB0_1 Depth=1
	s_add_i32 s8, s4, 0xae
	s_mov_b32 s9, s5
	v_mov_b32_e32 v1, s8
	v_mov_b32_e32 v2, s9
	global_store_dwordx2 v0, v[1:2], s[2:3]
.LBB0_350:                              ;   Parent Loop BB0_1 Depth=1
                                        ; =>  This Inner Loop Header: Depth=2
	global_load_dwordx2 v[1:2], v0, s[0:1] glc
	s_waitcnt vmcnt(0)
	v_cmp_ne_u64_e32 vcc, s[8:9], v[1:2]
	s_cbranch_vccnz .LBB0_350
; %bb.351:                              ;   in Loop: Header=BB0_1 Depth=1
	s_add_i32 s8, s4, 0xaf
	s_mov_b32 s9, s5
	v_mov_b32_e32 v1, s8
	v_mov_b32_e32 v2, s9
	global_store_dwordx2 v0, v[1:2], s[2:3]
.LBB0_352:                              ;   Parent Loop BB0_1 Depth=1
                                        ; =>  This Inner Loop Header: Depth=2
	global_load_dwordx2 v[1:2], v0, s[0:1] glc
	s_waitcnt vmcnt(0)
	v_cmp_ne_u64_e32 vcc, s[8:9], v[1:2]
	s_cbranch_vccnz .LBB0_352
; %bb.353:                              ;   in Loop: Header=BB0_1 Depth=1
	s_add_i32 s8, s4, 0xb0
	s_mov_b32 s9, s5
	v_mov_b32_e32 v1, s8
	v_mov_b32_e32 v2, s9
	global_store_dwordx2 v0, v[1:2], s[2:3]
.LBB0_354:                              ;   Parent Loop BB0_1 Depth=1
                                        ; =>  This Inner Loop Header: Depth=2
	global_load_dwordx2 v[1:2], v0, s[0:1] glc
	s_waitcnt vmcnt(0)
	v_cmp_ne_u64_e32 vcc, s[8:9], v[1:2]
	s_cbranch_vccnz .LBB0_354
; %bb.355:                              ;   in Loop: Header=BB0_1 Depth=1
	s_add_i32 s8, s4, 0xb1
	s_mov_b32 s9, s5
	v_mov_b32_e32 v1, s8
	v_mov_b32_e32 v2, s9
	global_store_dwordx2 v0, v[1:2], s[2:3]
.LBB0_356:                              ;   Parent Loop BB0_1 Depth=1
                                        ; =>  This Inner Loop Header: Depth=2
	global_load_dwordx2 v[1:2], v0, s[0:1] glc
	s_waitcnt vmcnt(0)
	v_cmp_ne_u64_e32 vcc, s[8:9], v[1:2]
	s_cbranch_vccnz .LBB0_356
; %bb.357:                              ;   in Loop: Header=BB0_1 Depth=1
	s_add_i32 s8, s4, 0xb2
	s_mov_b32 s9, s5
	v_mov_b32_e32 v1, s8
	v_mov_b32_e32 v2, s9
	global_store_dwordx2 v0, v[1:2], s[2:3]
.LBB0_358:                              ;   Parent Loop BB0_1 Depth=1
                                        ; =>  This Inner Loop Header: Depth=2
	global_load_dwordx2 v[1:2], v0, s[0:1] glc
	s_waitcnt vmcnt(0)
	v_cmp_ne_u64_e32 vcc, s[8:9], v[1:2]
	s_cbranch_vccnz .LBB0_358
; %bb.359:                              ;   in Loop: Header=BB0_1 Depth=1
	s_add_i32 s8, s4, 0xb3
	s_mov_b32 s9, s5
	v_mov_b32_e32 v1, s8
	v_mov_b32_e32 v2, s9
	global_store_dwordx2 v0, v[1:2], s[2:3]
.LBB0_360:                              ;   Parent Loop BB0_1 Depth=1
                                        ; =>  This Inner Loop Header: Depth=2
	global_load_dwordx2 v[1:2], v0, s[0:1] glc
	s_waitcnt vmcnt(0)
	v_cmp_ne_u64_e32 vcc, s[8:9], v[1:2]
	s_cbranch_vccnz .LBB0_360
; %bb.361:                              ;   in Loop: Header=BB0_1 Depth=1
	s_add_i32 s8, s4, 0xb4
	s_mov_b32 s9, s5
	v_mov_b32_e32 v1, s8
	v_mov_b32_e32 v2, s9
	global_store_dwordx2 v0, v[1:2], s[2:3]
.LBB0_362:                              ;   Parent Loop BB0_1 Depth=1
                                        ; =>  This Inner Loop Header: Depth=2
	global_load_dwordx2 v[1:2], v0, s[0:1] glc
	s_waitcnt vmcnt(0)
	v_cmp_ne_u64_e32 vcc, s[8:9], v[1:2]
	s_cbranch_vccnz .LBB0_362
; %bb.363:                              ;   in Loop: Header=BB0_1 Depth=1
	s_add_i32 s8, s4, 0xb5
	s_mov_b32 s9, s5
	v_mov_b32_e32 v1, s8
	v_mov_b32_e32 v2, s9
	global_store_dwordx2 v0, v[1:2], s[2:3]
.LBB0_364:                              ;   Parent Loop BB0_1 Depth=1
                                        ; =>  This Inner Loop Header: Depth=2
	global_load_dwordx2 v[1:2], v0, s[0:1] glc
	s_waitcnt vmcnt(0)
	v_cmp_ne_u64_e32 vcc, s[8:9], v[1:2]
	s_cbranch_vccnz .LBB0_364
; %bb.365:                              ;   in Loop: Header=BB0_1 Depth=1
	s_add_i32 s8, s4, 0xb6
	s_mov_b32 s9, s5
	v_mov_b32_e32 v1, s8
	v_mov_b32_e32 v2, s9
	global_store_dwordx2 v0, v[1:2], s[2:3]
.LBB0_366:                              ;   Parent Loop BB0_1 Depth=1
                                        ; =>  This Inner Loop Header: Depth=2
	global_load_dwordx2 v[1:2], v0, s[0:1] glc
	s_waitcnt vmcnt(0)
	v_cmp_ne_u64_e32 vcc, s[8:9], v[1:2]
	s_cbranch_vccnz .LBB0_366
; %bb.367:                              ;   in Loop: Header=BB0_1 Depth=1
	s_add_i32 s8, s4, 0xb7
	s_mov_b32 s9, s5
	v_mov_b32_e32 v1, s8
	v_mov_b32_e32 v2, s9
	global_store_dwordx2 v0, v[1:2], s[2:3]
.LBB0_368:                              ;   Parent Loop BB0_1 Depth=1
                                        ; =>  This Inner Loop Header: Depth=2
	global_load_dwordx2 v[1:2], v0, s[0:1] glc
	s_waitcnt vmcnt(0)
	v_cmp_ne_u64_e32 vcc, s[8:9], v[1:2]
	s_cbranch_vccnz .LBB0_368
; %bb.369:                              ;   in Loop: Header=BB0_1 Depth=1
	s_add_i32 s8, s4, 0xb8
	s_mov_b32 s9, s5
	v_mov_b32_e32 v1, s8
	v_mov_b32_e32 v2, s9
	global_store_dwordx2 v0, v[1:2], s[2:3]
.LBB0_370:                              ;   Parent Loop BB0_1 Depth=1
                                        ; =>  This Inner Loop Header: Depth=2
	global_load_dwordx2 v[1:2], v0, s[0:1] glc
	s_waitcnt vmcnt(0)
	v_cmp_ne_u64_e32 vcc, s[8:9], v[1:2]
	s_cbranch_vccnz .LBB0_370
; %bb.371:                              ;   in Loop: Header=BB0_1 Depth=1
	s_add_i32 s8, s4, 0xb9
	s_mov_b32 s9, s5
	v_mov_b32_e32 v1, s8
	v_mov_b32_e32 v2, s9
	global_store_dwordx2 v0, v[1:2], s[2:3]
.LBB0_372:                              ;   Parent Loop BB0_1 Depth=1
                                        ; =>  This Inner Loop Header: Depth=2
	global_load_dwordx2 v[1:2], v0, s[0:1] glc
	s_waitcnt vmcnt(0)
	v_cmp_ne_u64_e32 vcc, s[8:9], v[1:2]
	s_cbranch_vccnz .LBB0_372
; %bb.373:                              ;   in Loop: Header=BB0_1 Depth=1
	s_add_i32 s8, s4, 0xba
	s_mov_b32 s9, s5
	v_mov_b32_e32 v1, s8
	v_mov_b32_e32 v2, s9
	global_store_dwordx2 v0, v[1:2], s[2:3]
.LBB0_374:                              ;   Parent Loop BB0_1 Depth=1
                                        ; =>  This Inner Loop Header: Depth=2
	global_load_dwordx2 v[1:2], v0, s[0:1] glc
	s_waitcnt vmcnt(0)
	v_cmp_ne_u64_e32 vcc, s[8:9], v[1:2]
	s_cbranch_vccnz .LBB0_374
; %bb.375:                              ;   in Loop: Header=BB0_1 Depth=1
	s_add_i32 s8, s4, 0xbb
	s_mov_b32 s9, s5
	v_mov_b32_e32 v1, s8
	v_mov_b32_e32 v2, s9
	global_store_dwordx2 v0, v[1:2], s[2:3]
.LBB0_376:                              ;   Parent Loop BB0_1 Depth=1
                                        ; =>  This Inner Loop Header: Depth=2
	global_load_dwordx2 v[1:2], v0, s[0:1] glc
	s_waitcnt vmcnt(0)
	v_cmp_ne_u64_e32 vcc, s[8:9], v[1:2]
	s_cbranch_vccnz .LBB0_376
; %bb.377:                              ;   in Loop: Header=BB0_1 Depth=1
	s_add_i32 s8, s4, 0xbc
	s_mov_b32 s9, s5
	v_mov_b32_e32 v1, s8
	v_mov_b32_e32 v2, s9
	global_store_dwordx2 v0, v[1:2], s[2:3]
.LBB0_378:                              ;   Parent Loop BB0_1 Depth=1
                                        ; =>  This Inner Loop Header: Depth=2
	global_load_dwordx2 v[1:2], v0, s[0:1] glc
	s_waitcnt vmcnt(0)
	v_cmp_ne_u64_e32 vcc, s[8:9], v[1:2]
	s_cbranch_vccnz .LBB0_378
; %bb.379:                              ;   in Loop: Header=BB0_1 Depth=1
	s_add_i32 s8, s4, 0xbd
	s_mov_b32 s9, s5
	v_mov_b32_e32 v1, s8
	v_mov_b32_e32 v2, s9
	global_store_dwordx2 v0, v[1:2], s[2:3]
.LBB0_380:                              ;   Parent Loop BB0_1 Depth=1
                                        ; =>  This Inner Loop Header: Depth=2
	global_load_dwordx2 v[1:2], v0, s[0:1] glc
	s_waitcnt vmcnt(0)
	v_cmp_ne_u64_e32 vcc, s[8:9], v[1:2]
	s_cbranch_vccnz .LBB0_380
; %bb.381:                              ;   in Loop: Header=BB0_1 Depth=1
	s_add_i32 s8, s4, 0xbe
	s_mov_b32 s9, s5
	v_mov_b32_e32 v1, s8
	v_mov_b32_e32 v2, s9
	global_store_dwordx2 v0, v[1:2], s[2:3]
.LBB0_382:                              ;   Parent Loop BB0_1 Depth=1
                                        ; =>  This Inner Loop Header: Depth=2
	global_load_dwordx2 v[1:2], v0, s[0:1] glc
	s_waitcnt vmcnt(0)
	v_cmp_ne_u64_e32 vcc, s[8:9], v[1:2]
	s_cbranch_vccnz .LBB0_382
; %bb.383:                              ;   in Loop: Header=BB0_1 Depth=1
	s_add_i32 s8, s4, 0xbf
	s_mov_b32 s9, s5
	v_mov_b32_e32 v1, s8
	v_mov_b32_e32 v2, s9
	global_store_dwordx2 v0, v[1:2], s[2:3]
.LBB0_384:                              ;   Parent Loop BB0_1 Depth=1
                                        ; =>  This Inner Loop Header: Depth=2
	global_load_dwordx2 v[1:2], v0, s[0:1] glc
	s_waitcnt vmcnt(0)
	v_cmp_ne_u64_e32 vcc, s[8:9], v[1:2]
	s_cbranch_vccnz .LBB0_384
; %bb.385:                              ;   in Loop: Header=BB0_1 Depth=1
	s_add_i32 s8, s4, 0xc0
	s_mov_b32 s9, s5
	v_mov_b32_e32 v1, s8
	v_mov_b32_e32 v2, s9
	global_store_dwordx2 v0, v[1:2], s[2:3]
.LBB0_386:                              ;   Parent Loop BB0_1 Depth=1
                                        ; =>  This Inner Loop Header: Depth=2
	global_load_dwordx2 v[1:2], v0, s[0:1] glc
	s_waitcnt vmcnt(0)
	v_cmp_ne_u64_e32 vcc, s[8:9], v[1:2]
	s_cbranch_vccnz .LBB0_386
; %bb.387:                              ;   in Loop: Header=BB0_1 Depth=1
	s_add_i32 s8, s4, 0xc1
	s_mov_b32 s9, s5
	v_mov_b32_e32 v1, s8
	v_mov_b32_e32 v2, s9
	global_store_dwordx2 v0, v[1:2], s[2:3]
.LBB0_388:                              ;   Parent Loop BB0_1 Depth=1
                                        ; =>  This Inner Loop Header: Depth=2
	global_load_dwordx2 v[1:2], v0, s[0:1] glc
	s_waitcnt vmcnt(0)
	v_cmp_ne_u64_e32 vcc, s[8:9], v[1:2]
	s_cbranch_vccnz .LBB0_388
; %bb.389:                              ;   in Loop: Header=BB0_1 Depth=1
	s_add_i32 s8, s4, 0xc2
	s_mov_b32 s9, s5
	v_mov_b32_e32 v1, s8
	v_mov_b32_e32 v2, s9
	global_store_dwordx2 v0, v[1:2], s[2:3]
.LBB0_390:                              ;   Parent Loop BB0_1 Depth=1
                                        ; =>  This Inner Loop Header: Depth=2
	global_load_dwordx2 v[1:2], v0, s[0:1] glc
	s_waitcnt vmcnt(0)
	v_cmp_ne_u64_e32 vcc, s[8:9], v[1:2]
	s_cbranch_vccnz .LBB0_390
; %bb.391:                              ;   in Loop: Header=BB0_1 Depth=1
	s_add_i32 s8, s4, 0xc3
	s_mov_b32 s9, s5
	v_mov_b32_e32 v1, s8
	v_mov_b32_e32 v2, s9
	global_store_dwordx2 v0, v[1:2], s[2:3]
.LBB0_392:                              ;   Parent Loop BB0_1 Depth=1
                                        ; =>  This Inner Loop Header: Depth=2
	global_load_dwordx2 v[1:2], v0, s[0:1] glc
	s_waitcnt vmcnt(0)
	v_cmp_ne_u64_e32 vcc, s[8:9], v[1:2]
	s_cbranch_vccnz .LBB0_392
; %bb.393:                              ;   in Loop: Header=BB0_1 Depth=1
	s_add_i32 s8, s4, 0xc4
	s_mov_b32 s9, s5
	v_mov_b32_e32 v1, s8
	v_mov_b32_e32 v2, s9
	global_store_dwordx2 v0, v[1:2], s[2:3]
.LBB0_394:                              ;   Parent Loop BB0_1 Depth=1
                                        ; =>  This Inner Loop Header: Depth=2
	global_load_dwordx2 v[1:2], v0, s[0:1] glc
	s_waitcnt vmcnt(0)
	v_cmp_ne_u64_e32 vcc, s[8:9], v[1:2]
	s_cbranch_vccnz .LBB0_394
; %bb.395:                              ;   in Loop: Header=BB0_1 Depth=1
	s_add_i32 s8, s4, 0xc5
	s_mov_b32 s9, s5
	v_mov_b32_e32 v1, s8
	v_mov_b32_e32 v2, s9
	global_store_dwordx2 v0, v[1:2], s[2:3]
.LBB0_396:                              ;   Parent Loop BB0_1 Depth=1
                                        ; =>  This Inner Loop Header: Depth=2
	global_load_dwordx2 v[1:2], v0, s[0:1] glc
	s_waitcnt vmcnt(0)
	v_cmp_ne_u64_e32 vcc, s[8:9], v[1:2]
	s_cbranch_vccnz .LBB0_396
; %bb.397:                              ;   in Loop: Header=BB0_1 Depth=1
	s_add_i32 s8, s4, 0xc6
	s_mov_b32 s9, s5
	v_mov_b32_e32 v1, s8
	v_mov_b32_e32 v2, s9
	global_store_dwordx2 v0, v[1:2], s[2:3]
.LBB0_398:                              ;   Parent Loop BB0_1 Depth=1
                                        ; =>  This Inner Loop Header: Depth=2
	global_load_dwordx2 v[1:2], v0, s[0:1] glc
	s_waitcnt vmcnt(0)
	v_cmp_ne_u64_e32 vcc, s[8:9], v[1:2]
	s_cbranch_vccnz .LBB0_398
; %bb.399:                              ;   in Loop: Header=BB0_1 Depth=1
	s_add_i32 s8, s4, 0xc7
	s_mov_b32 s9, s5
	v_mov_b32_e32 v1, s8
	v_mov_b32_e32 v2, s9
	global_store_dwordx2 v0, v[1:2], s[2:3]
.LBB0_400:                              ;   Parent Loop BB0_1 Depth=1
                                        ; =>  This Inner Loop Header: Depth=2
	global_load_dwordx2 v[1:2], v0, s[0:1] glc
	s_waitcnt vmcnt(0)
	v_cmp_ne_u64_e32 vcc, s[8:9], v[1:2]
	s_cbranch_vccnz .LBB0_400
; %bb.401:                              ;   in Loop: Header=BB0_1 Depth=1
	s_add_i32 s8, s4, 0xc8
	s_mov_b32 s9, s5
	v_mov_b32_e32 v1, s8
	v_mov_b32_e32 v2, s9
	global_store_dwordx2 v0, v[1:2], s[2:3]
.LBB0_402:                              ;   Parent Loop BB0_1 Depth=1
                                        ; =>  This Inner Loop Header: Depth=2
	global_load_dwordx2 v[1:2], v0, s[0:1] glc
	s_waitcnt vmcnt(0)
	v_cmp_ne_u64_e32 vcc, s[8:9], v[1:2]
	s_cbranch_vccnz .LBB0_402
; %bb.403:                              ;   in Loop: Header=BB0_1 Depth=1
	s_add_i32 s8, s4, 0xc9
	s_mov_b32 s9, s5
	v_mov_b32_e32 v1, s8
	v_mov_b32_e32 v2, s9
	global_store_dwordx2 v0, v[1:2], s[2:3]
.LBB0_404:                              ;   Parent Loop BB0_1 Depth=1
                                        ; =>  This Inner Loop Header: Depth=2
	global_load_dwordx2 v[1:2], v0, s[0:1] glc
	s_waitcnt vmcnt(0)
	v_cmp_ne_u64_e32 vcc, s[8:9], v[1:2]
	s_cbranch_vccnz .LBB0_404
; %bb.405:                              ;   in Loop: Header=BB0_1 Depth=1
	s_add_i32 s8, s4, 0xca
	s_mov_b32 s9, s5
	v_mov_b32_e32 v1, s8
	v_mov_b32_e32 v2, s9
	global_store_dwordx2 v0, v[1:2], s[2:3]
.LBB0_406:                              ;   Parent Loop BB0_1 Depth=1
                                        ; =>  This Inner Loop Header: Depth=2
	global_load_dwordx2 v[1:2], v0, s[0:1] glc
	s_waitcnt vmcnt(0)
	v_cmp_ne_u64_e32 vcc, s[8:9], v[1:2]
	s_cbranch_vccnz .LBB0_406
; %bb.407:                              ;   in Loop: Header=BB0_1 Depth=1
	s_add_i32 s8, s4, 0xcb
	s_mov_b32 s9, s5
	v_mov_b32_e32 v1, s8
	v_mov_b32_e32 v2, s9
	global_store_dwordx2 v0, v[1:2], s[2:3]
.LBB0_408:                              ;   Parent Loop BB0_1 Depth=1
                                        ; =>  This Inner Loop Header: Depth=2
	global_load_dwordx2 v[1:2], v0, s[0:1] glc
	s_waitcnt vmcnt(0)
	v_cmp_ne_u64_e32 vcc, s[8:9], v[1:2]
	s_cbranch_vccnz .LBB0_408
; %bb.409:                              ;   in Loop: Header=BB0_1 Depth=1
	s_add_i32 s8, s4, 0xcc
	s_mov_b32 s9, s5
	v_mov_b32_e32 v1, s8
	v_mov_b32_e32 v2, s9
	global_store_dwordx2 v0, v[1:2], s[2:3]
.LBB0_410:                              ;   Parent Loop BB0_1 Depth=1
                                        ; =>  This Inner Loop Header: Depth=2
	global_load_dwordx2 v[1:2], v0, s[0:1] glc
	s_waitcnt vmcnt(0)
	v_cmp_ne_u64_e32 vcc, s[8:9], v[1:2]
	s_cbranch_vccnz .LBB0_410
; %bb.411:                              ;   in Loop: Header=BB0_1 Depth=1
	s_add_i32 s8, s4, 0xcd
	s_mov_b32 s9, s5
	v_mov_b32_e32 v1, s8
	v_mov_b32_e32 v2, s9
	global_store_dwordx2 v0, v[1:2], s[2:3]
.LBB0_412:                              ;   Parent Loop BB0_1 Depth=1
                                        ; =>  This Inner Loop Header: Depth=2
	global_load_dwordx2 v[1:2], v0, s[0:1] glc
	s_waitcnt vmcnt(0)
	v_cmp_ne_u64_e32 vcc, s[8:9], v[1:2]
	s_cbranch_vccnz .LBB0_412
; %bb.413:                              ;   in Loop: Header=BB0_1 Depth=1
	s_add_i32 s8, s4, 0xce
	s_mov_b32 s9, s5
	v_mov_b32_e32 v1, s8
	v_mov_b32_e32 v2, s9
	global_store_dwordx2 v0, v[1:2], s[2:3]
.LBB0_414:                              ;   Parent Loop BB0_1 Depth=1
                                        ; =>  This Inner Loop Header: Depth=2
	global_load_dwordx2 v[1:2], v0, s[0:1] glc
	s_waitcnt vmcnt(0)
	v_cmp_ne_u64_e32 vcc, s[8:9], v[1:2]
	s_cbranch_vccnz .LBB0_414
; %bb.415:                              ;   in Loop: Header=BB0_1 Depth=1
	s_add_i32 s8, s4, 0xcf
	s_mov_b32 s9, s5
	v_mov_b32_e32 v1, s8
	v_mov_b32_e32 v2, s9
	global_store_dwordx2 v0, v[1:2], s[2:3]
.LBB0_416:                              ;   Parent Loop BB0_1 Depth=1
                                        ; =>  This Inner Loop Header: Depth=2
	global_load_dwordx2 v[1:2], v0, s[0:1] glc
	s_waitcnt vmcnt(0)
	v_cmp_ne_u64_e32 vcc, s[8:9], v[1:2]
	s_cbranch_vccnz .LBB0_416
; %bb.417:                              ;   in Loop: Header=BB0_1 Depth=1
	s_add_i32 s8, s4, 0xd0
	s_mov_b32 s9, s5
	v_mov_b32_e32 v1, s8
	v_mov_b32_e32 v2, s9
	global_store_dwordx2 v0, v[1:2], s[2:3]
.LBB0_418:                              ;   Parent Loop BB0_1 Depth=1
                                        ; =>  This Inner Loop Header: Depth=2
	global_load_dwordx2 v[1:2], v0, s[0:1] glc
	s_waitcnt vmcnt(0)
	v_cmp_ne_u64_e32 vcc, s[8:9], v[1:2]
	s_cbranch_vccnz .LBB0_418
; %bb.419:                              ;   in Loop: Header=BB0_1 Depth=1
	s_add_i32 s8, s4, 0xd1
	s_mov_b32 s9, s5
	v_mov_b32_e32 v1, s8
	v_mov_b32_e32 v2, s9
	global_store_dwordx2 v0, v[1:2], s[2:3]
.LBB0_420:                              ;   Parent Loop BB0_1 Depth=1
                                        ; =>  This Inner Loop Header: Depth=2
	global_load_dwordx2 v[1:2], v0, s[0:1] glc
	s_waitcnt vmcnt(0)
	v_cmp_ne_u64_e32 vcc, s[8:9], v[1:2]
	s_cbranch_vccnz .LBB0_420
; %bb.421:                              ;   in Loop: Header=BB0_1 Depth=1
	s_add_i32 s8, s4, 0xd2
	s_mov_b32 s9, s5
	v_mov_b32_e32 v1, s8
	v_mov_b32_e32 v2, s9
	global_store_dwordx2 v0, v[1:2], s[2:3]
.LBB0_422:                              ;   Parent Loop BB0_1 Depth=1
                                        ; =>  This Inner Loop Header: Depth=2
	global_load_dwordx2 v[1:2], v0, s[0:1] glc
	s_waitcnt vmcnt(0)
	v_cmp_ne_u64_e32 vcc, s[8:9], v[1:2]
	s_cbranch_vccnz .LBB0_422
; %bb.423:                              ;   in Loop: Header=BB0_1 Depth=1
	s_add_i32 s8, s4, 0xd3
	s_mov_b32 s9, s5
	v_mov_b32_e32 v1, s8
	v_mov_b32_e32 v2, s9
	global_store_dwordx2 v0, v[1:2], s[2:3]
.LBB0_424:                              ;   Parent Loop BB0_1 Depth=1
                                        ; =>  This Inner Loop Header: Depth=2
	global_load_dwordx2 v[1:2], v0, s[0:1] glc
	s_waitcnt vmcnt(0)
	v_cmp_ne_u64_e32 vcc, s[8:9], v[1:2]
	s_cbranch_vccnz .LBB0_424
; %bb.425:                              ;   in Loop: Header=BB0_1 Depth=1
	s_add_i32 s8, s4, 0xd4
	s_mov_b32 s9, s5
	v_mov_b32_e32 v1, s8
	v_mov_b32_e32 v2, s9
	global_store_dwordx2 v0, v[1:2], s[2:3]
.LBB0_426:                              ;   Parent Loop BB0_1 Depth=1
                                        ; =>  This Inner Loop Header: Depth=2
	global_load_dwordx2 v[1:2], v0, s[0:1] glc
	s_waitcnt vmcnt(0)
	v_cmp_ne_u64_e32 vcc, s[8:9], v[1:2]
	s_cbranch_vccnz .LBB0_426
; %bb.427:                              ;   in Loop: Header=BB0_1 Depth=1
	s_add_i32 s8, s4, 0xd5
	s_mov_b32 s9, s5
	v_mov_b32_e32 v1, s8
	v_mov_b32_e32 v2, s9
	global_store_dwordx2 v0, v[1:2], s[2:3]
.LBB0_428:                              ;   Parent Loop BB0_1 Depth=1
                                        ; =>  This Inner Loop Header: Depth=2
	global_load_dwordx2 v[1:2], v0, s[0:1] glc
	s_waitcnt vmcnt(0)
	v_cmp_ne_u64_e32 vcc, s[8:9], v[1:2]
	s_cbranch_vccnz .LBB0_428
; %bb.429:                              ;   in Loop: Header=BB0_1 Depth=1
	s_add_i32 s8, s4, 0xd6
	s_mov_b32 s9, s5
	v_mov_b32_e32 v1, s8
	v_mov_b32_e32 v2, s9
	global_store_dwordx2 v0, v[1:2], s[2:3]
.LBB0_430:                              ;   Parent Loop BB0_1 Depth=1
                                        ; =>  This Inner Loop Header: Depth=2
	global_load_dwordx2 v[1:2], v0, s[0:1] glc
	s_waitcnt vmcnt(0)
	v_cmp_ne_u64_e32 vcc, s[8:9], v[1:2]
	s_cbranch_vccnz .LBB0_430
; %bb.431:                              ;   in Loop: Header=BB0_1 Depth=1
	s_add_i32 s8, s4, 0xd7
	s_mov_b32 s9, s5
	v_mov_b32_e32 v1, s8
	v_mov_b32_e32 v2, s9
	global_store_dwordx2 v0, v[1:2], s[2:3]
.LBB0_432:                              ;   Parent Loop BB0_1 Depth=1
                                        ; =>  This Inner Loop Header: Depth=2
	global_load_dwordx2 v[1:2], v0, s[0:1] glc
	s_waitcnt vmcnt(0)
	v_cmp_ne_u64_e32 vcc, s[8:9], v[1:2]
	s_cbranch_vccnz .LBB0_432
; %bb.433:                              ;   in Loop: Header=BB0_1 Depth=1
	s_add_i32 s8, s4, 0xd8
	s_mov_b32 s9, s5
	v_mov_b32_e32 v1, s8
	v_mov_b32_e32 v2, s9
	global_store_dwordx2 v0, v[1:2], s[2:3]
.LBB0_434:                              ;   Parent Loop BB0_1 Depth=1
                                        ; =>  This Inner Loop Header: Depth=2
	global_load_dwordx2 v[1:2], v0, s[0:1] glc
	s_waitcnt vmcnt(0)
	v_cmp_ne_u64_e32 vcc, s[8:9], v[1:2]
	s_cbranch_vccnz .LBB0_434
; %bb.435:                              ;   in Loop: Header=BB0_1 Depth=1
	s_add_i32 s8, s4, 0xd9
	s_mov_b32 s9, s5
	v_mov_b32_e32 v1, s8
	v_mov_b32_e32 v2, s9
	global_store_dwordx2 v0, v[1:2], s[2:3]
.LBB0_436:                              ;   Parent Loop BB0_1 Depth=1
                                        ; =>  This Inner Loop Header: Depth=2
	global_load_dwordx2 v[1:2], v0, s[0:1] glc
	s_waitcnt vmcnt(0)
	v_cmp_ne_u64_e32 vcc, s[8:9], v[1:2]
	s_cbranch_vccnz .LBB0_436
; %bb.437:                              ;   in Loop: Header=BB0_1 Depth=1
	s_add_i32 s8, s4, 0xda
	s_mov_b32 s9, s5
	v_mov_b32_e32 v1, s8
	v_mov_b32_e32 v2, s9
	global_store_dwordx2 v0, v[1:2], s[2:3]
.LBB0_438:                              ;   Parent Loop BB0_1 Depth=1
                                        ; =>  This Inner Loop Header: Depth=2
	global_load_dwordx2 v[1:2], v0, s[0:1] glc
	s_waitcnt vmcnt(0)
	v_cmp_ne_u64_e32 vcc, s[8:9], v[1:2]
	s_cbranch_vccnz .LBB0_438
; %bb.439:                              ;   in Loop: Header=BB0_1 Depth=1
	s_add_i32 s8, s4, 0xdb
	s_mov_b32 s9, s5
	v_mov_b32_e32 v1, s8
	v_mov_b32_e32 v2, s9
	global_store_dwordx2 v0, v[1:2], s[2:3]
.LBB0_440:                              ;   Parent Loop BB0_1 Depth=1
                                        ; =>  This Inner Loop Header: Depth=2
	global_load_dwordx2 v[1:2], v0, s[0:1] glc
	s_waitcnt vmcnt(0)
	v_cmp_ne_u64_e32 vcc, s[8:9], v[1:2]
	s_cbranch_vccnz .LBB0_440
; %bb.441:                              ;   in Loop: Header=BB0_1 Depth=1
	s_add_i32 s8, s4, 0xdc
	s_mov_b32 s9, s5
	v_mov_b32_e32 v1, s8
	v_mov_b32_e32 v2, s9
	global_store_dwordx2 v0, v[1:2], s[2:3]
.LBB0_442:                              ;   Parent Loop BB0_1 Depth=1
                                        ; =>  This Inner Loop Header: Depth=2
	global_load_dwordx2 v[1:2], v0, s[0:1] glc
	s_waitcnt vmcnt(0)
	v_cmp_ne_u64_e32 vcc, s[8:9], v[1:2]
	s_cbranch_vccnz .LBB0_442
; %bb.443:                              ;   in Loop: Header=BB0_1 Depth=1
	s_add_i32 s8, s4, 0xdd
	s_mov_b32 s9, s5
	v_mov_b32_e32 v1, s8
	v_mov_b32_e32 v2, s9
	global_store_dwordx2 v0, v[1:2], s[2:3]
.LBB0_444:                              ;   Parent Loop BB0_1 Depth=1
                                        ; =>  This Inner Loop Header: Depth=2
	global_load_dwordx2 v[1:2], v0, s[0:1] glc
	s_waitcnt vmcnt(0)
	v_cmp_ne_u64_e32 vcc, s[8:9], v[1:2]
	s_cbranch_vccnz .LBB0_444
; %bb.445:                              ;   in Loop: Header=BB0_1 Depth=1
	s_add_i32 s8, s4, 0xde
	s_mov_b32 s9, s5
	v_mov_b32_e32 v1, s8
	v_mov_b32_e32 v2, s9
	global_store_dwordx2 v0, v[1:2], s[2:3]
.LBB0_446:                              ;   Parent Loop BB0_1 Depth=1
                                        ; =>  This Inner Loop Header: Depth=2
	global_load_dwordx2 v[1:2], v0, s[0:1] glc
	s_waitcnt vmcnt(0)
	v_cmp_ne_u64_e32 vcc, s[8:9], v[1:2]
	s_cbranch_vccnz .LBB0_446
; %bb.447:                              ;   in Loop: Header=BB0_1 Depth=1
	s_add_i32 s8, s4, 0xdf
	s_mov_b32 s9, s5
	v_mov_b32_e32 v1, s8
	v_mov_b32_e32 v2, s9
	global_store_dwordx2 v0, v[1:2], s[2:3]
.LBB0_448:                              ;   Parent Loop BB0_1 Depth=1
                                        ; =>  This Inner Loop Header: Depth=2
	global_load_dwordx2 v[1:2], v0, s[0:1] glc
	s_waitcnt vmcnt(0)
	v_cmp_ne_u64_e32 vcc, s[8:9], v[1:2]
	s_cbranch_vccnz .LBB0_448
; %bb.449:                              ;   in Loop: Header=BB0_1 Depth=1
	s_add_i32 s8, s4, 0xe0
	s_mov_b32 s9, s5
	v_mov_b32_e32 v1, s8
	v_mov_b32_e32 v2, s9
	global_store_dwordx2 v0, v[1:2], s[2:3]
.LBB0_450:                              ;   Parent Loop BB0_1 Depth=1
                                        ; =>  This Inner Loop Header: Depth=2
	global_load_dwordx2 v[1:2], v0, s[0:1] glc
	s_waitcnt vmcnt(0)
	v_cmp_ne_u64_e32 vcc, s[8:9], v[1:2]
	s_cbranch_vccnz .LBB0_450
; %bb.451:                              ;   in Loop: Header=BB0_1 Depth=1
	s_add_i32 s8, s4, 0xe1
	s_mov_b32 s9, s5
	v_mov_b32_e32 v1, s8
	v_mov_b32_e32 v2, s9
	global_store_dwordx2 v0, v[1:2], s[2:3]
.LBB0_452:                              ;   Parent Loop BB0_1 Depth=1
                                        ; =>  This Inner Loop Header: Depth=2
	global_load_dwordx2 v[1:2], v0, s[0:1] glc
	s_waitcnt vmcnt(0)
	v_cmp_ne_u64_e32 vcc, s[8:9], v[1:2]
	s_cbranch_vccnz .LBB0_452
; %bb.453:                              ;   in Loop: Header=BB0_1 Depth=1
	s_add_i32 s8, s4, 0xe2
	s_mov_b32 s9, s5
	v_mov_b32_e32 v1, s8
	v_mov_b32_e32 v2, s9
	global_store_dwordx2 v0, v[1:2], s[2:3]
.LBB0_454:                              ;   Parent Loop BB0_1 Depth=1
                                        ; =>  This Inner Loop Header: Depth=2
	global_load_dwordx2 v[1:2], v0, s[0:1] glc
	s_waitcnt vmcnt(0)
	v_cmp_ne_u64_e32 vcc, s[8:9], v[1:2]
	s_cbranch_vccnz .LBB0_454
; %bb.455:                              ;   in Loop: Header=BB0_1 Depth=1
	s_add_i32 s8, s4, 0xe3
	s_mov_b32 s9, s5
	v_mov_b32_e32 v1, s8
	v_mov_b32_e32 v2, s9
	global_store_dwordx2 v0, v[1:2], s[2:3]
.LBB0_456:                              ;   Parent Loop BB0_1 Depth=1
                                        ; =>  This Inner Loop Header: Depth=2
	global_load_dwordx2 v[1:2], v0, s[0:1] glc
	s_waitcnt vmcnt(0)
	v_cmp_ne_u64_e32 vcc, s[8:9], v[1:2]
	s_cbranch_vccnz .LBB0_456
; %bb.457:                              ;   in Loop: Header=BB0_1 Depth=1
	s_add_i32 s8, s4, 0xe4
	s_mov_b32 s9, s5
	v_mov_b32_e32 v1, s8
	v_mov_b32_e32 v2, s9
	global_store_dwordx2 v0, v[1:2], s[2:3]
.LBB0_458:                              ;   Parent Loop BB0_1 Depth=1
                                        ; =>  This Inner Loop Header: Depth=2
	global_load_dwordx2 v[1:2], v0, s[0:1] glc
	s_waitcnt vmcnt(0)
	v_cmp_ne_u64_e32 vcc, s[8:9], v[1:2]
	s_cbranch_vccnz .LBB0_458
; %bb.459:                              ;   in Loop: Header=BB0_1 Depth=1
	s_add_i32 s8, s4, 0xe5
	s_mov_b32 s9, s5
	v_mov_b32_e32 v1, s8
	v_mov_b32_e32 v2, s9
	global_store_dwordx2 v0, v[1:2], s[2:3]
.LBB0_460:                              ;   Parent Loop BB0_1 Depth=1
                                        ; =>  This Inner Loop Header: Depth=2
	global_load_dwordx2 v[1:2], v0, s[0:1] glc
	s_waitcnt vmcnt(0)
	v_cmp_ne_u64_e32 vcc, s[8:9], v[1:2]
	s_cbranch_vccnz .LBB0_460
; %bb.461:                              ;   in Loop: Header=BB0_1 Depth=1
	s_add_i32 s8, s4, 0xe6
	s_mov_b32 s9, s5
	v_mov_b32_e32 v1, s8
	v_mov_b32_e32 v2, s9
	global_store_dwordx2 v0, v[1:2], s[2:3]
.LBB0_462:                              ;   Parent Loop BB0_1 Depth=1
                                        ; =>  This Inner Loop Header: Depth=2
	global_load_dwordx2 v[1:2], v0, s[0:1] glc
	s_waitcnt vmcnt(0)
	v_cmp_ne_u64_e32 vcc, s[8:9], v[1:2]
	s_cbranch_vccnz .LBB0_462
; %bb.463:                              ;   in Loop: Header=BB0_1 Depth=1
	s_add_i32 s8, s4, 0xe7
	s_mov_b32 s9, s5
	v_mov_b32_e32 v1, s8
	v_mov_b32_e32 v2, s9
	global_store_dwordx2 v0, v[1:2], s[2:3]
.LBB0_464:                              ;   Parent Loop BB0_1 Depth=1
                                        ; =>  This Inner Loop Header: Depth=2
	global_load_dwordx2 v[1:2], v0, s[0:1] glc
	s_waitcnt vmcnt(0)
	v_cmp_ne_u64_e32 vcc, s[8:9], v[1:2]
	s_cbranch_vccnz .LBB0_464
; %bb.465:                              ;   in Loop: Header=BB0_1 Depth=1
	s_add_i32 s8, s4, 0xe8
	s_mov_b32 s9, s5
	v_mov_b32_e32 v1, s8
	v_mov_b32_e32 v2, s9
	global_store_dwordx2 v0, v[1:2], s[2:3]
.LBB0_466:                              ;   Parent Loop BB0_1 Depth=1
                                        ; =>  This Inner Loop Header: Depth=2
	global_load_dwordx2 v[1:2], v0, s[0:1] glc
	s_waitcnt vmcnt(0)
	v_cmp_ne_u64_e32 vcc, s[8:9], v[1:2]
	s_cbranch_vccnz .LBB0_466
; %bb.467:                              ;   in Loop: Header=BB0_1 Depth=1
	s_add_i32 s8, s4, 0xe9
	s_mov_b32 s9, s5
	v_mov_b32_e32 v1, s8
	v_mov_b32_e32 v2, s9
	global_store_dwordx2 v0, v[1:2], s[2:3]
.LBB0_468:                              ;   Parent Loop BB0_1 Depth=1
                                        ; =>  This Inner Loop Header: Depth=2
	global_load_dwordx2 v[1:2], v0, s[0:1] glc
	s_waitcnt vmcnt(0)
	v_cmp_ne_u64_e32 vcc, s[8:9], v[1:2]
	s_cbranch_vccnz .LBB0_468
; %bb.469:                              ;   in Loop: Header=BB0_1 Depth=1
	s_add_i32 s8, s4, 0xea
	s_mov_b32 s9, s5
	v_mov_b32_e32 v1, s8
	v_mov_b32_e32 v2, s9
	global_store_dwordx2 v0, v[1:2], s[2:3]
.LBB0_470:                              ;   Parent Loop BB0_1 Depth=1
                                        ; =>  This Inner Loop Header: Depth=2
	global_load_dwordx2 v[1:2], v0, s[0:1] glc
	s_waitcnt vmcnt(0)
	v_cmp_ne_u64_e32 vcc, s[8:9], v[1:2]
	s_cbranch_vccnz .LBB0_470
; %bb.471:                              ;   in Loop: Header=BB0_1 Depth=1
	s_add_i32 s8, s4, 0xeb
	s_mov_b32 s9, s5
	v_mov_b32_e32 v1, s8
	v_mov_b32_e32 v2, s9
	global_store_dwordx2 v0, v[1:2], s[2:3]
.LBB0_472:                              ;   Parent Loop BB0_1 Depth=1
                                        ; =>  This Inner Loop Header: Depth=2
	global_load_dwordx2 v[1:2], v0, s[0:1] glc
	s_waitcnt vmcnt(0)
	v_cmp_ne_u64_e32 vcc, s[8:9], v[1:2]
	s_cbranch_vccnz .LBB0_472
; %bb.473:                              ;   in Loop: Header=BB0_1 Depth=1
	s_add_i32 s8, s4, 0xec
	s_mov_b32 s9, s5
	v_mov_b32_e32 v1, s8
	v_mov_b32_e32 v2, s9
	global_store_dwordx2 v0, v[1:2], s[2:3]
.LBB0_474:                              ;   Parent Loop BB0_1 Depth=1
                                        ; =>  This Inner Loop Header: Depth=2
	global_load_dwordx2 v[1:2], v0, s[0:1] glc
	s_waitcnt vmcnt(0)
	v_cmp_ne_u64_e32 vcc, s[8:9], v[1:2]
	s_cbranch_vccnz .LBB0_474
; %bb.475:                              ;   in Loop: Header=BB0_1 Depth=1
	s_add_i32 s8, s4, 0xed
	s_mov_b32 s9, s5
	v_mov_b32_e32 v1, s8
	v_mov_b32_e32 v2, s9
	global_store_dwordx2 v0, v[1:2], s[2:3]
.LBB0_476:                              ;   Parent Loop BB0_1 Depth=1
                                        ; =>  This Inner Loop Header: Depth=2
	global_load_dwordx2 v[1:2], v0, s[0:1] glc
	s_waitcnt vmcnt(0)
	v_cmp_ne_u64_e32 vcc, s[8:9], v[1:2]
	s_cbranch_vccnz .LBB0_476
; %bb.477:                              ;   in Loop: Header=BB0_1 Depth=1
	s_add_i32 s8, s4, 0xee
	s_mov_b32 s9, s5
	v_mov_b32_e32 v1, s8
	v_mov_b32_e32 v2, s9
	global_store_dwordx2 v0, v[1:2], s[2:3]
.LBB0_478:                              ;   Parent Loop BB0_1 Depth=1
                                        ; =>  This Inner Loop Header: Depth=2
	global_load_dwordx2 v[1:2], v0, s[0:1] glc
	s_waitcnt vmcnt(0)
	v_cmp_ne_u64_e32 vcc, s[8:9], v[1:2]
	s_cbranch_vccnz .LBB0_478
; %bb.479:                              ;   in Loop: Header=BB0_1 Depth=1
	s_add_i32 s8, s4, 0xef
	s_mov_b32 s9, s5
	v_mov_b32_e32 v1, s8
	v_mov_b32_e32 v2, s9
	global_store_dwordx2 v0, v[1:2], s[2:3]
.LBB0_480:                              ;   Parent Loop BB0_1 Depth=1
                                        ; =>  This Inner Loop Header: Depth=2
	global_load_dwordx2 v[1:2], v0, s[0:1] glc
	s_waitcnt vmcnt(0)
	v_cmp_ne_u64_e32 vcc, s[8:9], v[1:2]
	s_cbranch_vccnz .LBB0_480
; %bb.481:                              ;   in Loop: Header=BB0_1 Depth=1
	s_add_i32 s8, s4, 0xf0
	s_mov_b32 s9, s5
	v_mov_b32_e32 v1, s8
	v_mov_b32_e32 v2, s9
	global_store_dwordx2 v0, v[1:2], s[2:3]
.LBB0_482:                              ;   Parent Loop BB0_1 Depth=1
                                        ; =>  This Inner Loop Header: Depth=2
	global_load_dwordx2 v[1:2], v0, s[0:1] glc
	s_waitcnt vmcnt(0)
	v_cmp_ne_u64_e32 vcc, s[8:9], v[1:2]
	s_cbranch_vccnz .LBB0_482
; %bb.483:                              ;   in Loop: Header=BB0_1 Depth=1
	s_add_i32 s8, s4, 0xf1
	s_mov_b32 s9, s5
	v_mov_b32_e32 v1, s8
	v_mov_b32_e32 v2, s9
	global_store_dwordx2 v0, v[1:2], s[2:3]
.LBB0_484:                              ;   Parent Loop BB0_1 Depth=1
                                        ; =>  This Inner Loop Header: Depth=2
	global_load_dwordx2 v[1:2], v0, s[0:1] glc
	s_waitcnt vmcnt(0)
	v_cmp_ne_u64_e32 vcc, s[8:9], v[1:2]
	s_cbranch_vccnz .LBB0_484
; %bb.485:                              ;   in Loop: Header=BB0_1 Depth=1
	s_add_i32 s8, s4, 0xf2
	s_mov_b32 s9, s5
	v_mov_b32_e32 v1, s8
	v_mov_b32_e32 v2, s9
	global_store_dwordx2 v0, v[1:2], s[2:3]
.LBB0_486:                              ;   Parent Loop BB0_1 Depth=1
                                        ; =>  This Inner Loop Header: Depth=2
	global_load_dwordx2 v[1:2], v0, s[0:1] glc
	s_waitcnt vmcnt(0)
	v_cmp_ne_u64_e32 vcc, s[8:9], v[1:2]
	s_cbranch_vccnz .LBB0_486
; %bb.487:                              ;   in Loop: Header=BB0_1 Depth=1
	s_add_i32 s8, s4, 0xf3
	s_mov_b32 s9, s5
	v_mov_b32_e32 v1, s8
	v_mov_b32_e32 v2, s9
	global_store_dwordx2 v0, v[1:2], s[2:3]
.LBB0_488:                              ;   Parent Loop BB0_1 Depth=1
                                        ; =>  This Inner Loop Header: Depth=2
	global_load_dwordx2 v[1:2], v0, s[0:1] glc
	s_waitcnt vmcnt(0)
	v_cmp_ne_u64_e32 vcc, s[8:9], v[1:2]
	s_cbranch_vccnz .LBB0_488
; %bb.489:                              ;   in Loop: Header=BB0_1 Depth=1
	s_add_i32 s8, s4, 0xf4
	s_mov_b32 s9, s5
	v_mov_b32_e32 v1, s8
	v_mov_b32_e32 v2, s9
	global_store_dwordx2 v0, v[1:2], s[2:3]
.LBB0_490:                              ;   Parent Loop BB0_1 Depth=1
                                        ; =>  This Inner Loop Header: Depth=2
	global_load_dwordx2 v[1:2], v0, s[0:1] glc
	s_waitcnt vmcnt(0)
	v_cmp_ne_u64_e32 vcc, s[8:9], v[1:2]
	s_cbranch_vccnz .LBB0_490
; %bb.491:                              ;   in Loop: Header=BB0_1 Depth=1
	s_add_i32 s8, s4, 0xf5
	s_mov_b32 s9, s5
	v_mov_b32_e32 v1, s8
	v_mov_b32_e32 v2, s9
	global_store_dwordx2 v0, v[1:2], s[2:3]
.LBB0_492:                              ;   Parent Loop BB0_1 Depth=1
                                        ; =>  This Inner Loop Header: Depth=2
	global_load_dwordx2 v[1:2], v0, s[0:1] glc
	s_waitcnt vmcnt(0)
	v_cmp_ne_u64_e32 vcc, s[8:9], v[1:2]
	s_cbranch_vccnz .LBB0_492
; %bb.493:                              ;   in Loop: Header=BB0_1 Depth=1
	s_add_i32 s8, s4, 0xf6
	s_mov_b32 s9, s5
	v_mov_b32_e32 v1, s8
	v_mov_b32_e32 v2, s9
	global_store_dwordx2 v0, v[1:2], s[2:3]
.LBB0_494:                              ;   Parent Loop BB0_1 Depth=1
                                        ; =>  This Inner Loop Header: Depth=2
	global_load_dwordx2 v[1:2], v0, s[0:1] glc
	s_waitcnt vmcnt(0)
	v_cmp_ne_u64_e32 vcc, s[8:9], v[1:2]
	s_cbranch_vccnz .LBB0_494
; %bb.495:                              ;   in Loop: Header=BB0_1 Depth=1
	s_add_i32 s8, s4, 0xf7
	s_mov_b32 s9, s5
	v_mov_b32_e32 v1, s8
	v_mov_b32_e32 v2, s9
	global_store_dwordx2 v0, v[1:2], s[2:3]
.LBB0_496:                              ;   Parent Loop BB0_1 Depth=1
                                        ; =>  This Inner Loop Header: Depth=2
	global_load_dwordx2 v[1:2], v0, s[0:1] glc
	s_waitcnt vmcnt(0)
	v_cmp_ne_u64_e32 vcc, s[8:9], v[1:2]
	s_cbranch_vccnz .LBB0_496
; %bb.497:                              ;   in Loop: Header=BB0_1 Depth=1
	s_add_i32 s8, s4, 0xf8
	s_mov_b32 s9, s5
	v_mov_b32_e32 v1, s8
	v_mov_b32_e32 v2, s9
	global_store_dwordx2 v0, v[1:2], s[2:3]
.LBB0_498:                              ;   Parent Loop BB0_1 Depth=1
                                        ; =>  This Inner Loop Header: Depth=2
	global_load_dwordx2 v[1:2], v0, s[0:1] glc
	s_waitcnt vmcnt(0)
	v_cmp_ne_u64_e32 vcc, s[8:9], v[1:2]
	s_cbranch_vccnz .LBB0_498
; %bb.499:                              ;   in Loop: Header=BB0_1 Depth=1
	s_add_i32 s8, s4, 0xf9
	s_mov_b32 s9, s5
	v_mov_b32_e32 v1, s8
	v_mov_b32_e32 v2, s9
	global_store_dwordx2 v0, v[1:2], s[2:3]
.LBB0_500:                              ;   Parent Loop BB0_1 Depth=1
                                        ; =>  This Inner Loop Header: Depth=2
	global_load_dwordx2 v[1:2], v0, s[0:1] glc
	s_waitcnt vmcnt(0)
	v_cmp_ne_u64_e32 vcc, s[8:9], v[1:2]
	s_cbranch_vccnz .LBB0_500
; %bb.501:                              ;   in Loop: Header=BB0_1 Depth=1
	s_add_i32 s8, s4, 0xfa
	s_mov_b32 s9, s5
	v_mov_b32_e32 v1, s8
	v_mov_b32_e32 v2, s9
	global_store_dwordx2 v0, v[1:2], s[2:3]
.LBB0_502:                              ;   Parent Loop BB0_1 Depth=1
                                        ; =>  This Inner Loop Header: Depth=2
	global_load_dwordx2 v[1:2], v0, s[0:1] glc
	s_waitcnt vmcnt(0)
	v_cmp_ne_u64_e32 vcc, s[8:9], v[1:2]
	s_cbranch_vccnz .LBB0_502
; %bb.503:                              ;   in Loop: Header=BB0_1 Depth=1
	s_add_i32 s8, s4, 0xfb
	s_mov_b32 s9, s5
	v_mov_b32_e32 v1, s8
	v_mov_b32_e32 v2, s9
	global_store_dwordx2 v0, v[1:2], s[2:3]
.LBB0_504:                              ;   Parent Loop BB0_1 Depth=1
                                        ; =>  This Inner Loop Header: Depth=2
	global_load_dwordx2 v[1:2], v0, s[0:1] glc
	s_waitcnt vmcnt(0)
	v_cmp_ne_u64_e32 vcc, s[8:9], v[1:2]
	s_cbranch_vccnz .LBB0_504
; %bb.505:                              ;   in Loop: Header=BB0_1 Depth=1
	s_add_i32 s8, s4, 0xfc
	s_mov_b32 s9, s5
	v_mov_b32_e32 v1, s8
	v_mov_b32_e32 v2, s9
	global_store_dwordx2 v0, v[1:2], s[2:3]
.LBB0_506:                              ;   Parent Loop BB0_1 Depth=1
                                        ; =>  This Inner Loop Header: Depth=2
	global_load_dwordx2 v[1:2], v0, s[0:1] glc
	s_waitcnt vmcnt(0)
	v_cmp_ne_u64_e32 vcc, s[8:9], v[1:2]
	s_cbranch_vccnz .LBB0_506
; %bb.507:                              ;   in Loop: Header=BB0_1 Depth=1
	s_add_i32 s8, s4, 0xfd
	s_mov_b32 s9, s5
	v_mov_b32_e32 v1, s8
	v_mov_b32_e32 v2, s9
	global_store_dwordx2 v0, v[1:2], s[2:3]
.LBB0_508:                              ;   Parent Loop BB0_1 Depth=1
                                        ; =>  This Inner Loop Header: Depth=2
	global_load_dwordx2 v[1:2], v0, s[0:1] glc
	s_waitcnt vmcnt(0)
	v_cmp_ne_u64_e32 vcc, s[8:9], v[1:2]
	s_cbranch_vccnz .LBB0_508
; %bb.509:                              ;   in Loop: Header=BB0_1 Depth=1
	s_add_i32 s8, s4, 0xfe
	s_mov_b32 s9, s5
	v_mov_b32_e32 v1, s8
	v_mov_b32_e32 v2, s9
	global_store_dwordx2 v0, v[1:2], s[2:3]
.LBB0_510:                              ;   Parent Loop BB0_1 Depth=1
                                        ; =>  This Inner Loop Header: Depth=2
	global_load_dwordx2 v[1:2], v0, s[0:1] glc
	s_waitcnt vmcnt(0)
	v_cmp_ne_u64_e32 vcc, s[8:9], v[1:2]
	s_cbranch_vccnz .LBB0_510
; %bb.511:                              ;   in Loop: Header=BB0_1 Depth=1
	s_add_i32 s8, s4, 0xff
	s_mov_b32 s9, s5
	v_mov_b32_e32 v1, s8
	v_mov_b32_e32 v2, s9
	global_store_dwordx2 v0, v[1:2], s[2:3]
.LBB0_512:                              ;   Parent Loop BB0_1 Depth=1
                                        ; =>  This Inner Loop Header: Depth=2
	global_load_dwordx2 v[1:2], v0, s[0:1] glc
	s_waitcnt vmcnt(0)
	v_cmp_ne_u64_e32 vcc, s[8:9], v[1:2]
	s_cbranch_vccnz .LBB0_512
; %bb.513:                              ;   in Loop: Header=BB0_1 Depth=1
	s_add_i32 s8, s4, 0x100
	s_mov_b32 s9, s5
	v_mov_b32_e32 v1, s8
	v_mov_b32_e32 v2, s9
	global_store_dwordx2 v0, v[1:2], s[2:3]
.LBB0_514:                              ;   Parent Loop BB0_1 Depth=1
                                        ; =>  This Inner Loop Header: Depth=2
	global_load_dwordx2 v[1:2], v0, s[0:1] glc
	s_waitcnt vmcnt(0)
	v_cmp_ne_u64_e32 vcc, s[8:9], v[1:2]
	s_cbranch_vccnz .LBB0_514
; %bb.515:                              ;   in Loop: Header=BB0_1 Depth=1
	s_add_i32 s8, s4, 0x101
	s_mov_b32 s9, s5
	v_mov_b32_e32 v1, s8
	v_mov_b32_e32 v2, s9
	global_store_dwordx2 v0, v[1:2], s[2:3]
.LBB0_516:                              ;   Parent Loop BB0_1 Depth=1
                                        ; =>  This Inner Loop Header: Depth=2
	global_load_dwordx2 v[1:2], v0, s[0:1] glc
	s_waitcnt vmcnt(0)
	v_cmp_ne_u64_e32 vcc, s[8:9], v[1:2]
	s_cbranch_vccnz .LBB0_516
; %bb.517:                              ;   in Loop: Header=BB0_1 Depth=1
	s_add_i32 s8, s4, 0x102
	s_mov_b32 s9, s5
	v_mov_b32_e32 v1, s8
	v_mov_b32_e32 v2, s9
	global_store_dwordx2 v0, v[1:2], s[2:3]
.LBB0_518:                              ;   Parent Loop BB0_1 Depth=1
                                        ; =>  This Inner Loop Header: Depth=2
	global_load_dwordx2 v[1:2], v0, s[0:1] glc
	s_waitcnt vmcnt(0)
	v_cmp_ne_u64_e32 vcc, s[8:9], v[1:2]
	s_cbranch_vccnz .LBB0_518
; %bb.519:                              ;   in Loop: Header=BB0_1 Depth=1
	s_add_i32 s8, s4, 0x103
	s_mov_b32 s9, s5
	v_mov_b32_e32 v1, s8
	v_mov_b32_e32 v2, s9
	global_store_dwordx2 v0, v[1:2], s[2:3]
.LBB0_520:                              ;   Parent Loop BB0_1 Depth=1
                                        ; =>  This Inner Loop Header: Depth=2
	global_load_dwordx2 v[1:2], v0, s[0:1] glc
	s_waitcnt vmcnt(0)
	v_cmp_ne_u64_e32 vcc, s[8:9], v[1:2]
	s_cbranch_vccnz .LBB0_520
; %bb.521:                              ;   in Loop: Header=BB0_1 Depth=1
	s_add_i32 s8, s4, 0x104
	s_mov_b32 s9, s5
	v_mov_b32_e32 v1, s8
	v_mov_b32_e32 v2, s9
	global_store_dwordx2 v0, v[1:2], s[2:3]
.LBB0_522:                              ;   Parent Loop BB0_1 Depth=1
                                        ; =>  This Inner Loop Header: Depth=2
	global_load_dwordx2 v[1:2], v0, s[0:1] glc
	s_waitcnt vmcnt(0)
	v_cmp_ne_u64_e32 vcc, s[8:9], v[1:2]
	s_cbranch_vccnz .LBB0_522
; %bb.523:                              ;   in Loop: Header=BB0_1 Depth=1
	s_add_i32 s8, s4, 0x105
	s_mov_b32 s9, s5
	v_mov_b32_e32 v1, s8
	v_mov_b32_e32 v2, s9
	global_store_dwordx2 v0, v[1:2], s[2:3]
.LBB0_524:                              ;   Parent Loop BB0_1 Depth=1
                                        ; =>  This Inner Loop Header: Depth=2
	global_load_dwordx2 v[1:2], v0, s[0:1] glc
	s_waitcnt vmcnt(0)
	v_cmp_ne_u64_e32 vcc, s[8:9], v[1:2]
	s_cbranch_vccnz .LBB0_524
; %bb.525:                              ;   in Loop: Header=BB0_1 Depth=1
	s_add_i32 s8, s4, 0x106
	s_mov_b32 s9, s5
	v_mov_b32_e32 v1, s8
	v_mov_b32_e32 v2, s9
	global_store_dwordx2 v0, v[1:2], s[2:3]
.LBB0_526:                              ;   Parent Loop BB0_1 Depth=1
                                        ; =>  This Inner Loop Header: Depth=2
	global_load_dwordx2 v[1:2], v0, s[0:1] glc
	s_waitcnt vmcnt(0)
	v_cmp_ne_u64_e32 vcc, s[8:9], v[1:2]
	s_cbranch_vccnz .LBB0_526
; %bb.527:                              ;   in Loop: Header=BB0_1 Depth=1
	s_add_i32 s8, s4, 0x107
	s_mov_b32 s9, s5
	v_mov_b32_e32 v1, s8
	v_mov_b32_e32 v2, s9
	global_store_dwordx2 v0, v[1:2], s[2:3]
.LBB0_528:                              ;   Parent Loop BB0_1 Depth=1
                                        ; =>  This Inner Loop Header: Depth=2
	global_load_dwordx2 v[1:2], v0, s[0:1] glc
	s_waitcnt vmcnt(0)
	v_cmp_ne_u64_e32 vcc, s[8:9], v[1:2]
	s_cbranch_vccnz .LBB0_528
; %bb.529:                              ;   in Loop: Header=BB0_1 Depth=1
	s_add_i32 s8, s4, 0x108
	s_mov_b32 s9, s5
	v_mov_b32_e32 v1, s8
	v_mov_b32_e32 v2, s9
	global_store_dwordx2 v0, v[1:2], s[2:3]
.LBB0_530:                              ;   Parent Loop BB0_1 Depth=1
                                        ; =>  This Inner Loop Header: Depth=2
	global_load_dwordx2 v[1:2], v0, s[0:1] glc
	s_waitcnt vmcnt(0)
	v_cmp_ne_u64_e32 vcc, s[8:9], v[1:2]
	s_cbranch_vccnz .LBB0_530
; %bb.531:                              ;   in Loop: Header=BB0_1 Depth=1
	s_add_i32 s8, s4, 0x109
	s_mov_b32 s9, s5
	v_mov_b32_e32 v1, s8
	v_mov_b32_e32 v2, s9
	global_store_dwordx2 v0, v[1:2], s[2:3]
.LBB0_532:                              ;   Parent Loop BB0_1 Depth=1
                                        ; =>  This Inner Loop Header: Depth=2
	global_load_dwordx2 v[1:2], v0, s[0:1] glc
	s_waitcnt vmcnt(0)
	v_cmp_ne_u64_e32 vcc, s[8:9], v[1:2]
	s_cbranch_vccnz .LBB0_532
; %bb.533:                              ;   in Loop: Header=BB0_1 Depth=1
	s_add_i32 s8, s4, 0x10a
	s_mov_b32 s9, s5
	v_mov_b32_e32 v1, s8
	v_mov_b32_e32 v2, s9
	global_store_dwordx2 v0, v[1:2], s[2:3]
.LBB0_534:                              ;   Parent Loop BB0_1 Depth=1
                                        ; =>  This Inner Loop Header: Depth=2
	global_load_dwordx2 v[1:2], v0, s[0:1] glc
	s_waitcnt vmcnt(0)
	v_cmp_ne_u64_e32 vcc, s[8:9], v[1:2]
	s_cbranch_vccnz .LBB0_534
; %bb.535:                              ;   in Loop: Header=BB0_1 Depth=1
	s_add_i32 s8, s4, 0x10b
	s_mov_b32 s9, s5
	v_mov_b32_e32 v1, s8
	v_mov_b32_e32 v2, s9
	global_store_dwordx2 v0, v[1:2], s[2:3]
.LBB0_536:                              ;   Parent Loop BB0_1 Depth=1
                                        ; =>  This Inner Loop Header: Depth=2
	global_load_dwordx2 v[1:2], v0, s[0:1] glc
	s_waitcnt vmcnt(0)
	v_cmp_ne_u64_e32 vcc, s[8:9], v[1:2]
	s_cbranch_vccnz .LBB0_536
; %bb.537:                              ;   in Loop: Header=BB0_1 Depth=1
	s_add_i32 s8, s4, 0x10c
	s_mov_b32 s9, s5
	v_mov_b32_e32 v1, s8
	v_mov_b32_e32 v2, s9
	global_store_dwordx2 v0, v[1:2], s[2:3]
.LBB0_538:                              ;   Parent Loop BB0_1 Depth=1
                                        ; =>  This Inner Loop Header: Depth=2
	global_load_dwordx2 v[1:2], v0, s[0:1] glc
	s_waitcnt vmcnt(0)
	v_cmp_ne_u64_e32 vcc, s[8:9], v[1:2]
	s_cbranch_vccnz .LBB0_538
; %bb.539:                              ;   in Loop: Header=BB0_1 Depth=1
	s_add_i32 s8, s4, 0x10d
	s_mov_b32 s9, s5
	v_mov_b32_e32 v1, s8
	v_mov_b32_e32 v2, s9
	global_store_dwordx2 v0, v[1:2], s[2:3]
.LBB0_540:                              ;   Parent Loop BB0_1 Depth=1
                                        ; =>  This Inner Loop Header: Depth=2
	global_load_dwordx2 v[1:2], v0, s[0:1] glc
	s_waitcnt vmcnt(0)
	v_cmp_ne_u64_e32 vcc, s[8:9], v[1:2]
	s_cbranch_vccnz .LBB0_540
; %bb.541:                              ;   in Loop: Header=BB0_1 Depth=1
	s_add_i32 s8, s4, 0x10e
	s_mov_b32 s9, s5
	v_mov_b32_e32 v1, s8
	v_mov_b32_e32 v2, s9
	global_store_dwordx2 v0, v[1:2], s[2:3]
.LBB0_542:                              ;   Parent Loop BB0_1 Depth=1
                                        ; =>  This Inner Loop Header: Depth=2
	global_load_dwordx2 v[1:2], v0, s[0:1] glc
	s_waitcnt vmcnt(0)
	v_cmp_ne_u64_e32 vcc, s[8:9], v[1:2]
	s_cbranch_vccnz .LBB0_542
; %bb.543:                              ;   in Loop: Header=BB0_1 Depth=1
	s_add_i32 s8, s4, 0x10f
	s_mov_b32 s9, s5
	v_mov_b32_e32 v1, s8
	v_mov_b32_e32 v2, s9
	global_store_dwordx2 v0, v[1:2], s[2:3]
.LBB0_544:                              ;   Parent Loop BB0_1 Depth=1
                                        ; =>  This Inner Loop Header: Depth=2
	global_load_dwordx2 v[1:2], v0, s[0:1] glc
	s_waitcnt vmcnt(0)
	v_cmp_ne_u64_e32 vcc, s[8:9], v[1:2]
	s_cbranch_vccnz .LBB0_544
; %bb.545:                              ;   in Loop: Header=BB0_1 Depth=1
	s_add_i32 s8, s4, 0x110
	s_mov_b32 s9, s5
	v_mov_b32_e32 v1, s8
	v_mov_b32_e32 v2, s9
	global_store_dwordx2 v0, v[1:2], s[2:3]
.LBB0_546:                              ;   Parent Loop BB0_1 Depth=1
                                        ; =>  This Inner Loop Header: Depth=2
	global_load_dwordx2 v[1:2], v0, s[0:1] glc
	s_waitcnt vmcnt(0)
	v_cmp_ne_u64_e32 vcc, s[8:9], v[1:2]
	s_cbranch_vccnz .LBB0_546
; %bb.547:                              ;   in Loop: Header=BB0_1 Depth=1
	s_add_i32 s8, s4, 0x111
	s_mov_b32 s9, s5
	v_mov_b32_e32 v1, s8
	v_mov_b32_e32 v2, s9
	global_store_dwordx2 v0, v[1:2], s[2:3]
.LBB0_548:                              ;   Parent Loop BB0_1 Depth=1
                                        ; =>  This Inner Loop Header: Depth=2
	global_load_dwordx2 v[1:2], v0, s[0:1] glc
	s_waitcnt vmcnt(0)
	v_cmp_ne_u64_e32 vcc, s[8:9], v[1:2]
	s_cbranch_vccnz .LBB0_548
; %bb.549:                              ;   in Loop: Header=BB0_1 Depth=1
	s_add_i32 s8, s4, 0x112
	s_mov_b32 s9, s5
	v_mov_b32_e32 v1, s8
	v_mov_b32_e32 v2, s9
	global_store_dwordx2 v0, v[1:2], s[2:3]
.LBB0_550:                              ;   Parent Loop BB0_1 Depth=1
                                        ; =>  This Inner Loop Header: Depth=2
	global_load_dwordx2 v[1:2], v0, s[0:1] glc
	s_waitcnt vmcnt(0)
	v_cmp_ne_u64_e32 vcc, s[8:9], v[1:2]
	s_cbranch_vccnz .LBB0_550
; %bb.551:                              ;   in Loop: Header=BB0_1 Depth=1
	s_add_i32 s8, s4, 0x113
	s_mov_b32 s9, s5
	v_mov_b32_e32 v1, s8
	v_mov_b32_e32 v2, s9
	global_store_dwordx2 v0, v[1:2], s[2:3]
.LBB0_552:                              ;   Parent Loop BB0_1 Depth=1
                                        ; =>  This Inner Loop Header: Depth=2
	global_load_dwordx2 v[1:2], v0, s[0:1] glc
	s_waitcnt vmcnt(0)
	v_cmp_ne_u64_e32 vcc, s[8:9], v[1:2]
	s_cbranch_vccnz .LBB0_552
; %bb.553:                              ;   in Loop: Header=BB0_1 Depth=1
	s_add_i32 s8, s4, 0x114
	s_mov_b32 s9, s5
	v_mov_b32_e32 v1, s8
	v_mov_b32_e32 v2, s9
	global_store_dwordx2 v0, v[1:2], s[2:3]
.LBB0_554:                              ;   Parent Loop BB0_1 Depth=1
                                        ; =>  This Inner Loop Header: Depth=2
	global_load_dwordx2 v[1:2], v0, s[0:1] glc
	s_waitcnt vmcnt(0)
	v_cmp_ne_u64_e32 vcc, s[8:9], v[1:2]
	s_cbranch_vccnz .LBB0_554
; %bb.555:                              ;   in Loop: Header=BB0_1 Depth=1
	s_add_i32 s8, s4, 0x115
	s_mov_b32 s9, s5
	v_mov_b32_e32 v1, s8
	v_mov_b32_e32 v2, s9
	global_store_dwordx2 v0, v[1:2], s[2:3]
.LBB0_556:                              ;   Parent Loop BB0_1 Depth=1
                                        ; =>  This Inner Loop Header: Depth=2
	global_load_dwordx2 v[1:2], v0, s[0:1] glc
	s_waitcnt vmcnt(0)
	v_cmp_ne_u64_e32 vcc, s[8:9], v[1:2]
	s_cbranch_vccnz .LBB0_556
; %bb.557:                              ;   in Loop: Header=BB0_1 Depth=1
	s_add_i32 s8, s4, 0x116
	s_mov_b32 s9, s5
	v_mov_b32_e32 v1, s8
	v_mov_b32_e32 v2, s9
	global_store_dwordx2 v0, v[1:2], s[2:3]
.LBB0_558:                              ;   Parent Loop BB0_1 Depth=1
                                        ; =>  This Inner Loop Header: Depth=2
	global_load_dwordx2 v[1:2], v0, s[0:1] glc
	s_waitcnt vmcnt(0)
	v_cmp_ne_u64_e32 vcc, s[8:9], v[1:2]
	s_cbranch_vccnz .LBB0_558
; %bb.559:                              ;   in Loop: Header=BB0_1 Depth=1
	s_add_i32 s8, s4, 0x117
	s_mov_b32 s9, s5
	v_mov_b32_e32 v1, s8
	v_mov_b32_e32 v2, s9
	global_store_dwordx2 v0, v[1:2], s[2:3]
.LBB0_560:                              ;   Parent Loop BB0_1 Depth=1
                                        ; =>  This Inner Loop Header: Depth=2
	global_load_dwordx2 v[1:2], v0, s[0:1] glc
	s_waitcnt vmcnt(0)
	v_cmp_ne_u64_e32 vcc, s[8:9], v[1:2]
	s_cbranch_vccnz .LBB0_560
; %bb.561:                              ;   in Loop: Header=BB0_1 Depth=1
	s_add_i32 s8, s4, 0x118
	s_mov_b32 s9, s5
	v_mov_b32_e32 v1, s8
	v_mov_b32_e32 v2, s9
	global_store_dwordx2 v0, v[1:2], s[2:3]
.LBB0_562:                              ;   Parent Loop BB0_1 Depth=1
                                        ; =>  This Inner Loop Header: Depth=2
	global_load_dwordx2 v[1:2], v0, s[0:1] glc
	s_waitcnt vmcnt(0)
	v_cmp_ne_u64_e32 vcc, s[8:9], v[1:2]
	s_cbranch_vccnz .LBB0_562
; %bb.563:                              ;   in Loop: Header=BB0_1 Depth=1
	s_add_i32 s8, s4, 0x119
	s_mov_b32 s9, s5
	v_mov_b32_e32 v1, s8
	v_mov_b32_e32 v2, s9
	global_store_dwordx2 v0, v[1:2], s[2:3]
.LBB0_564:                              ;   Parent Loop BB0_1 Depth=1
                                        ; =>  This Inner Loop Header: Depth=2
	global_load_dwordx2 v[1:2], v0, s[0:1] glc
	s_waitcnt vmcnt(0)
	v_cmp_ne_u64_e32 vcc, s[8:9], v[1:2]
	s_cbranch_vccnz .LBB0_564
; %bb.565:                              ;   in Loop: Header=BB0_1 Depth=1
	s_add_i32 s8, s4, 0x11a
	s_mov_b32 s9, s5
	v_mov_b32_e32 v1, s8
	v_mov_b32_e32 v2, s9
	global_store_dwordx2 v0, v[1:2], s[2:3]
.LBB0_566:                              ;   Parent Loop BB0_1 Depth=1
                                        ; =>  This Inner Loop Header: Depth=2
	global_load_dwordx2 v[1:2], v0, s[0:1] glc
	s_waitcnt vmcnt(0)
	v_cmp_ne_u64_e32 vcc, s[8:9], v[1:2]
	s_cbranch_vccnz .LBB0_566
; %bb.567:                              ;   in Loop: Header=BB0_1 Depth=1
	s_add_i32 s8, s4, 0x11b
	s_mov_b32 s9, s5
	v_mov_b32_e32 v1, s8
	v_mov_b32_e32 v2, s9
	global_store_dwordx2 v0, v[1:2], s[2:3]
.LBB0_568:                              ;   Parent Loop BB0_1 Depth=1
                                        ; =>  This Inner Loop Header: Depth=2
	global_load_dwordx2 v[1:2], v0, s[0:1] glc
	s_waitcnt vmcnt(0)
	v_cmp_ne_u64_e32 vcc, s[8:9], v[1:2]
	s_cbranch_vccnz .LBB0_568
; %bb.569:                              ;   in Loop: Header=BB0_1 Depth=1
	s_add_i32 s8, s4, 0x11c
	s_mov_b32 s9, s5
	v_mov_b32_e32 v1, s8
	v_mov_b32_e32 v2, s9
	global_store_dwordx2 v0, v[1:2], s[2:3]
.LBB0_570:                              ;   Parent Loop BB0_1 Depth=1
                                        ; =>  This Inner Loop Header: Depth=2
	global_load_dwordx2 v[1:2], v0, s[0:1] glc
	s_waitcnt vmcnt(0)
	v_cmp_ne_u64_e32 vcc, s[8:9], v[1:2]
	s_cbranch_vccnz .LBB0_570
; %bb.571:                              ;   in Loop: Header=BB0_1 Depth=1
	s_add_i32 s8, s4, 0x11d
	s_mov_b32 s9, s5
	v_mov_b32_e32 v1, s8
	v_mov_b32_e32 v2, s9
	global_store_dwordx2 v0, v[1:2], s[2:3]
.LBB0_572:                              ;   Parent Loop BB0_1 Depth=1
                                        ; =>  This Inner Loop Header: Depth=2
	global_load_dwordx2 v[1:2], v0, s[0:1] glc
	s_waitcnt vmcnt(0)
	v_cmp_ne_u64_e32 vcc, s[8:9], v[1:2]
	s_cbranch_vccnz .LBB0_572
; %bb.573:                              ;   in Loop: Header=BB0_1 Depth=1
	s_add_i32 s8, s4, 0x11e
	s_mov_b32 s9, s5
	v_mov_b32_e32 v1, s8
	v_mov_b32_e32 v2, s9
	global_store_dwordx2 v0, v[1:2], s[2:3]
.LBB0_574:                              ;   Parent Loop BB0_1 Depth=1
                                        ; =>  This Inner Loop Header: Depth=2
	global_load_dwordx2 v[1:2], v0, s[0:1] glc
	s_waitcnt vmcnt(0)
	v_cmp_ne_u64_e32 vcc, s[8:9], v[1:2]
	s_cbranch_vccnz .LBB0_574
; %bb.575:                              ;   in Loop: Header=BB0_1 Depth=1
	s_add_i32 s8, s4, 0x11f
	s_mov_b32 s9, s5
	v_mov_b32_e32 v1, s8
	v_mov_b32_e32 v2, s9
	global_store_dwordx2 v0, v[1:2], s[2:3]
.LBB0_576:                              ;   Parent Loop BB0_1 Depth=1
                                        ; =>  This Inner Loop Header: Depth=2
	global_load_dwordx2 v[1:2], v0, s[0:1] glc
	s_waitcnt vmcnt(0)
	v_cmp_ne_u64_e32 vcc, s[8:9], v[1:2]
	s_cbranch_vccnz .LBB0_576
; %bb.577:                              ;   in Loop: Header=BB0_1 Depth=1
	s_add_i32 s8, s4, 0x120
	s_mov_b32 s9, s5
	v_mov_b32_e32 v1, s8
	v_mov_b32_e32 v2, s9
	global_store_dwordx2 v0, v[1:2], s[2:3]
.LBB0_578:                              ;   Parent Loop BB0_1 Depth=1
                                        ; =>  This Inner Loop Header: Depth=2
	global_load_dwordx2 v[1:2], v0, s[0:1] glc
	s_waitcnt vmcnt(0)
	v_cmp_ne_u64_e32 vcc, s[8:9], v[1:2]
	s_cbranch_vccnz .LBB0_578
; %bb.579:                              ;   in Loop: Header=BB0_1 Depth=1
	s_add_i32 s8, s4, 0x121
	s_mov_b32 s9, s5
	v_mov_b32_e32 v1, s8
	v_mov_b32_e32 v2, s9
	global_store_dwordx2 v0, v[1:2], s[2:3]
.LBB0_580:                              ;   Parent Loop BB0_1 Depth=1
                                        ; =>  This Inner Loop Header: Depth=2
	global_load_dwordx2 v[1:2], v0, s[0:1] glc
	s_waitcnt vmcnt(0)
	v_cmp_ne_u64_e32 vcc, s[8:9], v[1:2]
	s_cbranch_vccnz .LBB0_580
; %bb.581:                              ;   in Loop: Header=BB0_1 Depth=1
	s_add_i32 s8, s4, 0x122
	s_mov_b32 s9, s5
	v_mov_b32_e32 v1, s8
	v_mov_b32_e32 v2, s9
	global_store_dwordx2 v0, v[1:2], s[2:3]
.LBB0_582:                              ;   Parent Loop BB0_1 Depth=1
                                        ; =>  This Inner Loop Header: Depth=2
	global_load_dwordx2 v[1:2], v0, s[0:1] glc
	s_waitcnt vmcnt(0)
	v_cmp_ne_u64_e32 vcc, s[8:9], v[1:2]
	s_cbranch_vccnz .LBB0_582
; %bb.583:                              ;   in Loop: Header=BB0_1 Depth=1
	s_add_i32 s8, s4, 0x123
	s_mov_b32 s9, s5
	v_mov_b32_e32 v1, s8
	v_mov_b32_e32 v2, s9
	global_store_dwordx2 v0, v[1:2], s[2:3]
.LBB0_584:                              ;   Parent Loop BB0_1 Depth=1
                                        ; =>  This Inner Loop Header: Depth=2
	global_load_dwordx2 v[1:2], v0, s[0:1] glc
	s_waitcnt vmcnt(0)
	v_cmp_ne_u64_e32 vcc, s[8:9], v[1:2]
	s_cbranch_vccnz .LBB0_584
; %bb.585:                              ;   in Loop: Header=BB0_1 Depth=1
	s_add_i32 s8, s4, 0x124
	s_mov_b32 s9, s5
	v_mov_b32_e32 v1, s8
	v_mov_b32_e32 v2, s9
	global_store_dwordx2 v0, v[1:2], s[2:3]
.LBB0_586:                              ;   Parent Loop BB0_1 Depth=1
                                        ; =>  This Inner Loop Header: Depth=2
	global_load_dwordx2 v[1:2], v0, s[0:1] glc
	s_waitcnt vmcnt(0)
	v_cmp_ne_u64_e32 vcc, s[8:9], v[1:2]
	s_cbranch_vccnz .LBB0_586
; %bb.587:                              ;   in Loop: Header=BB0_1 Depth=1
	s_add_i32 s8, s4, 0x125
	s_mov_b32 s9, s5
	v_mov_b32_e32 v1, s8
	v_mov_b32_e32 v2, s9
	global_store_dwordx2 v0, v[1:2], s[2:3]
.LBB0_588:                              ;   Parent Loop BB0_1 Depth=1
                                        ; =>  This Inner Loop Header: Depth=2
	global_load_dwordx2 v[1:2], v0, s[0:1] glc
	s_waitcnt vmcnt(0)
	v_cmp_ne_u64_e32 vcc, s[8:9], v[1:2]
	s_cbranch_vccnz .LBB0_588
; %bb.589:                              ;   in Loop: Header=BB0_1 Depth=1
	s_add_i32 s8, s4, 0x126
	s_mov_b32 s9, s5
	v_mov_b32_e32 v1, s8
	v_mov_b32_e32 v2, s9
	global_store_dwordx2 v0, v[1:2], s[2:3]
.LBB0_590:                              ;   Parent Loop BB0_1 Depth=1
                                        ; =>  This Inner Loop Header: Depth=2
	global_load_dwordx2 v[1:2], v0, s[0:1] glc
	s_waitcnt vmcnt(0)
	v_cmp_ne_u64_e32 vcc, s[8:9], v[1:2]
	s_cbranch_vccnz .LBB0_590
; %bb.591:                              ;   in Loop: Header=BB0_1 Depth=1
	s_add_i32 s8, s4, 0x127
	s_mov_b32 s9, s5
	v_mov_b32_e32 v1, s8
	v_mov_b32_e32 v2, s9
	global_store_dwordx2 v0, v[1:2], s[2:3]
.LBB0_592:                              ;   Parent Loop BB0_1 Depth=1
                                        ; =>  This Inner Loop Header: Depth=2
	global_load_dwordx2 v[1:2], v0, s[0:1] glc
	s_waitcnt vmcnt(0)
	v_cmp_ne_u64_e32 vcc, s[8:9], v[1:2]
	s_cbranch_vccnz .LBB0_592
; %bb.593:                              ;   in Loop: Header=BB0_1 Depth=1
	s_add_i32 s8, s4, 0x128
	s_mov_b32 s9, s5
	v_mov_b32_e32 v1, s8
	v_mov_b32_e32 v2, s9
	global_store_dwordx2 v0, v[1:2], s[2:3]
.LBB0_594:                              ;   Parent Loop BB0_1 Depth=1
                                        ; =>  This Inner Loop Header: Depth=2
	global_load_dwordx2 v[1:2], v0, s[0:1] glc
	s_waitcnt vmcnt(0)
	v_cmp_ne_u64_e32 vcc, s[8:9], v[1:2]
	s_cbranch_vccnz .LBB0_594
; %bb.595:                              ;   in Loop: Header=BB0_1 Depth=1
	s_add_i32 s8, s4, 0x129
	s_mov_b32 s9, s5
	v_mov_b32_e32 v1, s8
	v_mov_b32_e32 v2, s9
	global_store_dwordx2 v0, v[1:2], s[2:3]
.LBB0_596:                              ;   Parent Loop BB0_1 Depth=1
                                        ; =>  This Inner Loop Header: Depth=2
	global_load_dwordx2 v[1:2], v0, s[0:1] glc
	s_waitcnt vmcnt(0)
	v_cmp_ne_u64_e32 vcc, s[8:9], v[1:2]
	s_cbranch_vccnz .LBB0_596
; %bb.597:                              ;   in Loop: Header=BB0_1 Depth=1
	s_add_i32 s8, s4, 0x12a
	s_mov_b32 s9, s5
	v_mov_b32_e32 v1, s8
	v_mov_b32_e32 v2, s9
	global_store_dwordx2 v0, v[1:2], s[2:3]
.LBB0_598:                              ;   Parent Loop BB0_1 Depth=1
                                        ; =>  This Inner Loop Header: Depth=2
	global_load_dwordx2 v[1:2], v0, s[0:1] glc
	s_waitcnt vmcnt(0)
	v_cmp_ne_u64_e32 vcc, s[8:9], v[1:2]
	s_cbranch_vccnz .LBB0_598
; %bb.599:                              ;   in Loop: Header=BB0_1 Depth=1
	s_add_i32 s8, s4, 0x12b
	s_mov_b32 s9, s5
	v_mov_b32_e32 v1, s8
	v_mov_b32_e32 v2, s9
	global_store_dwordx2 v0, v[1:2], s[2:3]
.LBB0_600:                              ;   Parent Loop BB0_1 Depth=1
                                        ; =>  This Inner Loop Header: Depth=2
	global_load_dwordx2 v[1:2], v0, s[0:1] glc
	s_waitcnt vmcnt(0)
	v_cmp_ne_u64_e32 vcc, s[8:9], v[1:2]
	s_cbranch_vccnz .LBB0_600
; %bb.601:                              ;   in Loop: Header=BB0_1 Depth=1
	s_add_i32 s8, s4, 0x12c
	s_mov_b32 s9, s5
	v_mov_b32_e32 v1, s8
	v_mov_b32_e32 v2, s9
	global_store_dwordx2 v0, v[1:2], s[2:3]
.LBB0_602:                              ;   Parent Loop BB0_1 Depth=1
                                        ; =>  This Inner Loop Header: Depth=2
	global_load_dwordx2 v[1:2], v0, s[0:1] glc
	s_waitcnt vmcnt(0)
	v_cmp_ne_u64_e32 vcc, s[8:9], v[1:2]
	s_cbranch_vccnz .LBB0_602
; %bb.603:                              ;   in Loop: Header=BB0_1 Depth=1
	s_add_i32 s8, s4, 0x12d
	s_mov_b32 s9, s5
	v_mov_b32_e32 v1, s8
	v_mov_b32_e32 v2, s9
	global_store_dwordx2 v0, v[1:2], s[2:3]
.LBB0_604:                              ;   Parent Loop BB0_1 Depth=1
                                        ; =>  This Inner Loop Header: Depth=2
	global_load_dwordx2 v[1:2], v0, s[0:1] glc
	s_waitcnt vmcnt(0)
	v_cmp_ne_u64_e32 vcc, s[8:9], v[1:2]
	s_cbranch_vccnz .LBB0_604
; %bb.605:                              ;   in Loop: Header=BB0_1 Depth=1
	s_add_i32 s8, s4, 0x12e
	s_mov_b32 s9, s5
	v_mov_b32_e32 v1, s8
	v_mov_b32_e32 v2, s9
	global_store_dwordx2 v0, v[1:2], s[2:3]
.LBB0_606:                              ;   Parent Loop BB0_1 Depth=1
                                        ; =>  This Inner Loop Header: Depth=2
	global_load_dwordx2 v[1:2], v0, s[0:1] glc
	s_waitcnt vmcnt(0)
	v_cmp_ne_u64_e32 vcc, s[8:9], v[1:2]
	s_cbranch_vccnz .LBB0_606
; %bb.607:                              ;   in Loop: Header=BB0_1 Depth=1
	s_add_i32 s8, s4, 0x12f
	s_mov_b32 s9, s5
	v_mov_b32_e32 v1, s8
	v_mov_b32_e32 v2, s9
	global_store_dwordx2 v0, v[1:2], s[2:3]
.LBB0_608:                              ;   Parent Loop BB0_1 Depth=1
                                        ; =>  This Inner Loop Header: Depth=2
	global_load_dwordx2 v[1:2], v0, s[0:1] glc
	s_waitcnt vmcnt(0)
	v_cmp_ne_u64_e32 vcc, s[8:9], v[1:2]
	s_cbranch_vccnz .LBB0_608
; %bb.609:                              ;   in Loop: Header=BB0_1 Depth=1
	s_add_i32 s8, s4, 0x130
	s_mov_b32 s9, s5
	v_mov_b32_e32 v1, s8
	v_mov_b32_e32 v2, s9
	global_store_dwordx2 v0, v[1:2], s[2:3]
.LBB0_610:                              ;   Parent Loop BB0_1 Depth=1
                                        ; =>  This Inner Loop Header: Depth=2
	global_load_dwordx2 v[1:2], v0, s[0:1] glc
	s_waitcnt vmcnt(0)
	v_cmp_ne_u64_e32 vcc, s[8:9], v[1:2]
	s_cbranch_vccnz .LBB0_610
; %bb.611:                              ;   in Loop: Header=BB0_1 Depth=1
	s_add_i32 s8, s4, 0x131
	s_mov_b32 s9, s5
	v_mov_b32_e32 v1, s8
	v_mov_b32_e32 v2, s9
	global_store_dwordx2 v0, v[1:2], s[2:3]
.LBB0_612:                              ;   Parent Loop BB0_1 Depth=1
                                        ; =>  This Inner Loop Header: Depth=2
	global_load_dwordx2 v[1:2], v0, s[0:1] glc
	s_waitcnt vmcnt(0)
	v_cmp_ne_u64_e32 vcc, s[8:9], v[1:2]
	s_cbranch_vccnz .LBB0_612
; %bb.613:                              ;   in Loop: Header=BB0_1 Depth=1
	s_add_i32 s8, s4, 0x132
	s_mov_b32 s9, s5
	v_mov_b32_e32 v1, s8
	v_mov_b32_e32 v2, s9
	global_store_dwordx2 v0, v[1:2], s[2:3]
.LBB0_614:                              ;   Parent Loop BB0_1 Depth=1
                                        ; =>  This Inner Loop Header: Depth=2
	global_load_dwordx2 v[1:2], v0, s[0:1] glc
	s_waitcnt vmcnt(0)
	v_cmp_ne_u64_e32 vcc, s[8:9], v[1:2]
	s_cbranch_vccnz .LBB0_614
; %bb.615:                              ;   in Loop: Header=BB0_1 Depth=1
	s_add_i32 s8, s4, 0x133
	s_mov_b32 s9, s5
	v_mov_b32_e32 v1, s8
	v_mov_b32_e32 v2, s9
	global_store_dwordx2 v0, v[1:2], s[2:3]
.LBB0_616:                              ;   Parent Loop BB0_1 Depth=1
                                        ; =>  This Inner Loop Header: Depth=2
	global_load_dwordx2 v[1:2], v0, s[0:1] glc
	s_waitcnt vmcnt(0)
	v_cmp_ne_u64_e32 vcc, s[8:9], v[1:2]
	s_cbranch_vccnz .LBB0_616
; %bb.617:                              ;   in Loop: Header=BB0_1 Depth=1
	s_add_i32 s8, s4, 0x134
	s_mov_b32 s9, s5
	v_mov_b32_e32 v1, s8
	v_mov_b32_e32 v2, s9
	global_store_dwordx2 v0, v[1:2], s[2:3]
.LBB0_618:                              ;   Parent Loop BB0_1 Depth=1
                                        ; =>  This Inner Loop Header: Depth=2
	global_load_dwordx2 v[1:2], v0, s[0:1] glc
	s_waitcnt vmcnt(0)
	v_cmp_ne_u64_e32 vcc, s[8:9], v[1:2]
	s_cbranch_vccnz .LBB0_618
; %bb.619:                              ;   in Loop: Header=BB0_1 Depth=1
	s_add_i32 s8, s4, 0x135
	s_mov_b32 s9, s5
	v_mov_b32_e32 v1, s8
	v_mov_b32_e32 v2, s9
	global_store_dwordx2 v0, v[1:2], s[2:3]
.LBB0_620:                              ;   Parent Loop BB0_1 Depth=1
                                        ; =>  This Inner Loop Header: Depth=2
	global_load_dwordx2 v[1:2], v0, s[0:1] glc
	s_waitcnt vmcnt(0)
	v_cmp_ne_u64_e32 vcc, s[8:9], v[1:2]
	s_cbranch_vccnz .LBB0_620
; %bb.621:                              ;   in Loop: Header=BB0_1 Depth=1
	s_add_i32 s8, s4, 0x136
	s_mov_b32 s9, s5
	v_mov_b32_e32 v1, s8
	v_mov_b32_e32 v2, s9
	global_store_dwordx2 v0, v[1:2], s[2:3]
.LBB0_622:                              ;   Parent Loop BB0_1 Depth=1
                                        ; =>  This Inner Loop Header: Depth=2
	global_load_dwordx2 v[1:2], v0, s[0:1] glc
	s_waitcnt vmcnt(0)
	v_cmp_ne_u64_e32 vcc, s[8:9], v[1:2]
	s_cbranch_vccnz .LBB0_622
; %bb.623:                              ;   in Loop: Header=BB0_1 Depth=1
	s_add_i32 s8, s4, 0x137
	s_mov_b32 s9, s5
	v_mov_b32_e32 v1, s8
	v_mov_b32_e32 v2, s9
	global_store_dwordx2 v0, v[1:2], s[2:3]
.LBB0_624:                              ;   Parent Loop BB0_1 Depth=1
                                        ; =>  This Inner Loop Header: Depth=2
	global_load_dwordx2 v[1:2], v0, s[0:1] glc
	s_waitcnt vmcnt(0)
	v_cmp_ne_u64_e32 vcc, s[8:9], v[1:2]
	s_cbranch_vccnz .LBB0_624
; %bb.625:                              ;   in Loop: Header=BB0_1 Depth=1
	s_add_i32 s8, s4, 0x138
	s_mov_b32 s9, s5
	v_mov_b32_e32 v1, s8
	v_mov_b32_e32 v2, s9
	global_store_dwordx2 v0, v[1:2], s[2:3]
.LBB0_626:                              ;   Parent Loop BB0_1 Depth=1
                                        ; =>  This Inner Loop Header: Depth=2
	global_load_dwordx2 v[1:2], v0, s[0:1] glc
	s_waitcnt vmcnt(0)
	v_cmp_ne_u64_e32 vcc, s[8:9], v[1:2]
	s_cbranch_vccnz .LBB0_626
; %bb.627:                              ;   in Loop: Header=BB0_1 Depth=1
	s_add_i32 s8, s4, 0x139
	s_mov_b32 s9, s5
	v_mov_b32_e32 v1, s8
	v_mov_b32_e32 v2, s9
	global_store_dwordx2 v0, v[1:2], s[2:3]
.LBB0_628:                              ;   Parent Loop BB0_1 Depth=1
                                        ; =>  This Inner Loop Header: Depth=2
	global_load_dwordx2 v[1:2], v0, s[0:1] glc
	s_waitcnt vmcnt(0)
	v_cmp_ne_u64_e32 vcc, s[8:9], v[1:2]
	s_cbranch_vccnz .LBB0_628
; %bb.629:                              ;   in Loop: Header=BB0_1 Depth=1
	s_add_i32 s8, s4, 0x13a
	s_mov_b32 s9, s5
	v_mov_b32_e32 v1, s8
	v_mov_b32_e32 v2, s9
	global_store_dwordx2 v0, v[1:2], s[2:3]
.LBB0_630:                              ;   Parent Loop BB0_1 Depth=1
                                        ; =>  This Inner Loop Header: Depth=2
	global_load_dwordx2 v[1:2], v0, s[0:1] glc
	s_waitcnt vmcnt(0)
	v_cmp_ne_u64_e32 vcc, s[8:9], v[1:2]
	s_cbranch_vccnz .LBB0_630
; %bb.631:                              ;   in Loop: Header=BB0_1 Depth=1
	s_add_i32 s8, s4, 0x13b
	s_mov_b32 s9, s5
	v_mov_b32_e32 v1, s8
	v_mov_b32_e32 v2, s9
	global_store_dwordx2 v0, v[1:2], s[2:3]
.LBB0_632:                              ;   Parent Loop BB0_1 Depth=1
                                        ; =>  This Inner Loop Header: Depth=2
	global_load_dwordx2 v[1:2], v0, s[0:1] glc
	s_waitcnt vmcnt(0)
	v_cmp_ne_u64_e32 vcc, s[8:9], v[1:2]
	s_cbranch_vccnz .LBB0_632
; %bb.633:                              ;   in Loop: Header=BB0_1 Depth=1
	s_add_i32 s8, s4, 0x13c
	s_mov_b32 s9, s5
	v_mov_b32_e32 v1, s8
	v_mov_b32_e32 v2, s9
	global_store_dwordx2 v0, v[1:2], s[2:3]
.LBB0_634:                              ;   Parent Loop BB0_1 Depth=1
                                        ; =>  This Inner Loop Header: Depth=2
	global_load_dwordx2 v[1:2], v0, s[0:1] glc
	s_waitcnt vmcnt(0)
	v_cmp_ne_u64_e32 vcc, s[8:9], v[1:2]
	s_cbranch_vccnz .LBB0_634
; %bb.635:                              ;   in Loop: Header=BB0_1 Depth=1
	s_add_i32 s8, s4, 0x13d
	s_mov_b32 s9, s5
	v_mov_b32_e32 v1, s8
	v_mov_b32_e32 v2, s9
	global_store_dwordx2 v0, v[1:2], s[2:3]
.LBB0_636:                              ;   Parent Loop BB0_1 Depth=1
                                        ; =>  This Inner Loop Header: Depth=2
	global_load_dwordx2 v[1:2], v0, s[0:1] glc
	s_waitcnt vmcnt(0)
	v_cmp_ne_u64_e32 vcc, s[8:9], v[1:2]
	s_cbranch_vccnz .LBB0_636
; %bb.637:                              ;   in Loop: Header=BB0_1 Depth=1
	s_add_i32 s8, s4, 0x13e
	s_mov_b32 s9, s5
	v_mov_b32_e32 v1, s8
	v_mov_b32_e32 v2, s9
	global_store_dwordx2 v0, v[1:2], s[2:3]
.LBB0_638:                              ;   Parent Loop BB0_1 Depth=1
                                        ; =>  This Inner Loop Header: Depth=2
	global_load_dwordx2 v[1:2], v0, s[0:1] glc
	s_waitcnt vmcnt(0)
	v_cmp_ne_u64_e32 vcc, s[8:9], v[1:2]
	s_cbranch_vccnz .LBB0_638
; %bb.639:                              ;   in Loop: Header=BB0_1 Depth=1
	s_add_i32 s8, s4, 0x13f
	s_mov_b32 s9, s5
	v_mov_b32_e32 v1, s8
	v_mov_b32_e32 v2, s9
	global_store_dwordx2 v0, v[1:2], s[2:3]
.LBB0_640:                              ;   Parent Loop BB0_1 Depth=1
                                        ; =>  This Inner Loop Header: Depth=2
	global_load_dwordx2 v[1:2], v0, s[0:1] glc
	s_waitcnt vmcnt(0)
	v_cmp_ne_u64_e32 vcc, s[8:9], v[1:2]
	s_cbranch_vccnz .LBB0_640
; %bb.641:                              ;   in Loop: Header=BB0_1 Depth=1
	s_add_i32 s8, s4, 0x140
	s_mov_b32 s9, s5
	v_mov_b32_e32 v1, s8
	v_mov_b32_e32 v2, s9
	global_store_dwordx2 v0, v[1:2], s[2:3]
.LBB0_642:                              ;   Parent Loop BB0_1 Depth=1
                                        ; =>  This Inner Loop Header: Depth=2
	global_load_dwordx2 v[1:2], v0, s[0:1] glc
	s_waitcnt vmcnt(0)
	v_cmp_ne_u64_e32 vcc, s[8:9], v[1:2]
	s_cbranch_vccnz .LBB0_642
; %bb.643:                              ;   in Loop: Header=BB0_1 Depth=1
	s_add_i32 s8, s4, 0x141
	s_mov_b32 s9, s5
	v_mov_b32_e32 v1, s8
	v_mov_b32_e32 v2, s9
	global_store_dwordx2 v0, v[1:2], s[2:3]
.LBB0_644:                              ;   Parent Loop BB0_1 Depth=1
                                        ; =>  This Inner Loop Header: Depth=2
	global_load_dwordx2 v[1:2], v0, s[0:1] glc
	s_waitcnt vmcnt(0)
	v_cmp_ne_u64_e32 vcc, s[8:9], v[1:2]
	s_cbranch_vccnz .LBB0_644
; %bb.645:                              ;   in Loop: Header=BB0_1 Depth=1
	s_add_i32 s8, s4, 0x142
	s_mov_b32 s9, s5
	v_mov_b32_e32 v1, s8
	v_mov_b32_e32 v2, s9
	global_store_dwordx2 v0, v[1:2], s[2:3]
.LBB0_646:                              ;   Parent Loop BB0_1 Depth=1
                                        ; =>  This Inner Loop Header: Depth=2
	global_load_dwordx2 v[1:2], v0, s[0:1] glc
	s_waitcnt vmcnt(0)
	v_cmp_ne_u64_e32 vcc, s[8:9], v[1:2]
	s_cbranch_vccnz .LBB0_646
; %bb.647:                              ;   in Loop: Header=BB0_1 Depth=1
	s_add_i32 s8, s4, 0x143
	s_mov_b32 s9, s5
	v_mov_b32_e32 v1, s8
	v_mov_b32_e32 v2, s9
	global_store_dwordx2 v0, v[1:2], s[2:3]
.LBB0_648:                              ;   Parent Loop BB0_1 Depth=1
                                        ; =>  This Inner Loop Header: Depth=2
	global_load_dwordx2 v[1:2], v0, s[0:1] glc
	s_waitcnt vmcnt(0)
	v_cmp_ne_u64_e32 vcc, s[8:9], v[1:2]
	s_cbranch_vccnz .LBB0_648
; %bb.649:                              ;   in Loop: Header=BB0_1 Depth=1
	s_add_i32 s8, s4, 0x144
	s_mov_b32 s9, s5
	v_mov_b32_e32 v1, s8
	v_mov_b32_e32 v2, s9
	global_store_dwordx2 v0, v[1:2], s[2:3]
.LBB0_650:                              ;   Parent Loop BB0_1 Depth=1
                                        ; =>  This Inner Loop Header: Depth=2
	global_load_dwordx2 v[1:2], v0, s[0:1] glc
	s_waitcnt vmcnt(0)
	v_cmp_ne_u64_e32 vcc, s[8:9], v[1:2]
	s_cbranch_vccnz .LBB0_650
; %bb.651:                              ;   in Loop: Header=BB0_1 Depth=1
	s_add_i32 s8, s4, 0x145
	s_mov_b32 s9, s5
	v_mov_b32_e32 v1, s8
	v_mov_b32_e32 v2, s9
	global_store_dwordx2 v0, v[1:2], s[2:3]
.LBB0_652:                              ;   Parent Loop BB0_1 Depth=1
                                        ; =>  This Inner Loop Header: Depth=2
	global_load_dwordx2 v[1:2], v0, s[0:1] glc
	s_waitcnt vmcnt(0)
	v_cmp_ne_u64_e32 vcc, s[8:9], v[1:2]
	s_cbranch_vccnz .LBB0_652
; %bb.653:                              ;   in Loop: Header=BB0_1 Depth=1
	s_add_i32 s8, s4, 0x146
	s_mov_b32 s9, s5
	v_mov_b32_e32 v1, s8
	v_mov_b32_e32 v2, s9
	global_store_dwordx2 v0, v[1:2], s[2:3]
.LBB0_654:                              ;   Parent Loop BB0_1 Depth=1
                                        ; =>  This Inner Loop Header: Depth=2
	global_load_dwordx2 v[1:2], v0, s[0:1] glc
	s_waitcnt vmcnt(0)
	v_cmp_ne_u64_e32 vcc, s[8:9], v[1:2]
	s_cbranch_vccnz .LBB0_654
; %bb.655:                              ;   in Loop: Header=BB0_1 Depth=1
	s_add_i32 s8, s4, 0x147
	s_mov_b32 s9, s5
	v_mov_b32_e32 v1, s8
	v_mov_b32_e32 v2, s9
	global_store_dwordx2 v0, v[1:2], s[2:3]
.LBB0_656:                              ;   Parent Loop BB0_1 Depth=1
                                        ; =>  This Inner Loop Header: Depth=2
	global_load_dwordx2 v[1:2], v0, s[0:1] glc
	s_waitcnt vmcnt(0)
	v_cmp_ne_u64_e32 vcc, s[8:9], v[1:2]
	s_cbranch_vccnz .LBB0_656
; %bb.657:                              ;   in Loop: Header=BB0_1 Depth=1
	s_add_i32 s8, s4, 0x148
	s_mov_b32 s9, s5
	v_mov_b32_e32 v1, s8
	v_mov_b32_e32 v2, s9
	global_store_dwordx2 v0, v[1:2], s[2:3]
.LBB0_658:                              ;   Parent Loop BB0_1 Depth=1
                                        ; =>  This Inner Loop Header: Depth=2
	global_load_dwordx2 v[1:2], v0, s[0:1] glc
	s_waitcnt vmcnt(0)
	v_cmp_ne_u64_e32 vcc, s[8:9], v[1:2]
	s_cbranch_vccnz .LBB0_658
; %bb.659:                              ;   in Loop: Header=BB0_1 Depth=1
	s_add_i32 s8, s4, 0x149
	s_mov_b32 s9, s5
	v_mov_b32_e32 v1, s8
	v_mov_b32_e32 v2, s9
	global_store_dwordx2 v0, v[1:2], s[2:3]
.LBB0_660:                              ;   Parent Loop BB0_1 Depth=1
                                        ; =>  This Inner Loop Header: Depth=2
	global_load_dwordx2 v[1:2], v0, s[0:1] glc
	s_waitcnt vmcnt(0)
	v_cmp_ne_u64_e32 vcc, s[8:9], v[1:2]
	s_cbranch_vccnz .LBB0_660
; %bb.661:                              ;   in Loop: Header=BB0_1 Depth=1
	s_add_i32 s8, s4, 0x14a
	s_mov_b32 s9, s5
	v_mov_b32_e32 v1, s8
	v_mov_b32_e32 v2, s9
	global_store_dwordx2 v0, v[1:2], s[2:3]
.LBB0_662:                              ;   Parent Loop BB0_1 Depth=1
                                        ; =>  This Inner Loop Header: Depth=2
	global_load_dwordx2 v[1:2], v0, s[0:1] glc
	s_waitcnt vmcnt(0)
	v_cmp_ne_u64_e32 vcc, s[8:9], v[1:2]
	s_cbranch_vccnz .LBB0_662
; %bb.663:                              ;   in Loop: Header=BB0_1 Depth=1
	s_add_i32 s8, s4, 0x14b
	s_mov_b32 s9, s5
	v_mov_b32_e32 v1, s8
	v_mov_b32_e32 v2, s9
	global_store_dwordx2 v0, v[1:2], s[2:3]
.LBB0_664:                              ;   Parent Loop BB0_1 Depth=1
                                        ; =>  This Inner Loop Header: Depth=2
	global_load_dwordx2 v[1:2], v0, s[0:1] glc
	s_waitcnt vmcnt(0)
	v_cmp_ne_u64_e32 vcc, s[8:9], v[1:2]
	s_cbranch_vccnz .LBB0_664
; %bb.665:                              ;   in Loop: Header=BB0_1 Depth=1
	s_add_i32 s8, s4, 0x14c
	s_mov_b32 s9, s5
	v_mov_b32_e32 v1, s8
	v_mov_b32_e32 v2, s9
	global_store_dwordx2 v0, v[1:2], s[2:3]
.LBB0_666:                              ;   Parent Loop BB0_1 Depth=1
                                        ; =>  This Inner Loop Header: Depth=2
	global_load_dwordx2 v[1:2], v0, s[0:1] glc
	s_waitcnt vmcnt(0)
	v_cmp_ne_u64_e32 vcc, s[8:9], v[1:2]
	s_cbranch_vccnz .LBB0_666
; %bb.667:                              ;   in Loop: Header=BB0_1 Depth=1
	s_add_i32 s8, s4, 0x14d
	s_mov_b32 s9, s5
	v_mov_b32_e32 v1, s8
	v_mov_b32_e32 v2, s9
	global_store_dwordx2 v0, v[1:2], s[2:3]
.LBB0_668:                              ;   Parent Loop BB0_1 Depth=1
                                        ; =>  This Inner Loop Header: Depth=2
	global_load_dwordx2 v[1:2], v0, s[0:1] glc
	s_waitcnt vmcnt(0)
	v_cmp_ne_u64_e32 vcc, s[8:9], v[1:2]
	s_cbranch_vccnz .LBB0_668
; %bb.669:                              ;   in Loop: Header=BB0_1 Depth=1
	s_add_i32 s8, s4, 0x14e
	s_mov_b32 s9, s5
	v_mov_b32_e32 v1, s8
	v_mov_b32_e32 v2, s9
	global_store_dwordx2 v0, v[1:2], s[2:3]
.LBB0_670:                              ;   Parent Loop BB0_1 Depth=1
                                        ; =>  This Inner Loop Header: Depth=2
	global_load_dwordx2 v[1:2], v0, s[0:1] glc
	s_waitcnt vmcnt(0)
	v_cmp_ne_u64_e32 vcc, s[8:9], v[1:2]
	s_cbranch_vccnz .LBB0_670
; %bb.671:                              ;   in Loop: Header=BB0_1 Depth=1
	s_add_i32 s8, s4, 0x14f
	s_mov_b32 s9, s5
	v_mov_b32_e32 v1, s8
	v_mov_b32_e32 v2, s9
	global_store_dwordx2 v0, v[1:2], s[2:3]
.LBB0_672:                              ;   Parent Loop BB0_1 Depth=1
                                        ; =>  This Inner Loop Header: Depth=2
	global_load_dwordx2 v[1:2], v0, s[0:1] glc
	s_waitcnt vmcnt(0)
	v_cmp_ne_u64_e32 vcc, s[8:9], v[1:2]
	s_cbranch_vccnz .LBB0_672
; %bb.673:                              ;   in Loop: Header=BB0_1 Depth=1
	s_add_i32 s8, s4, 0x150
	s_mov_b32 s9, s5
	v_mov_b32_e32 v1, s8
	v_mov_b32_e32 v2, s9
	global_store_dwordx2 v0, v[1:2], s[2:3]
.LBB0_674:                              ;   Parent Loop BB0_1 Depth=1
                                        ; =>  This Inner Loop Header: Depth=2
	global_load_dwordx2 v[1:2], v0, s[0:1] glc
	s_waitcnt vmcnt(0)
	v_cmp_ne_u64_e32 vcc, s[8:9], v[1:2]
	s_cbranch_vccnz .LBB0_674
; %bb.675:                              ;   in Loop: Header=BB0_1 Depth=1
	s_add_i32 s8, s4, 0x151
	s_mov_b32 s9, s5
	v_mov_b32_e32 v1, s8
	v_mov_b32_e32 v2, s9
	global_store_dwordx2 v0, v[1:2], s[2:3]
.LBB0_676:                              ;   Parent Loop BB0_1 Depth=1
                                        ; =>  This Inner Loop Header: Depth=2
	global_load_dwordx2 v[1:2], v0, s[0:1] glc
	s_waitcnt vmcnt(0)
	v_cmp_ne_u64_e32 vcc, s[8:9], v[1:2]
	s_cbranch_vccnz .LBB0_676
; %bb.677:                              ;   in Loop: Header=BB0_1 Depth=1
	s_add_i32 s8, s4, 0x152
	s_mov_b32 s9, s5
	v_mov_b32_e32 v1, s8
	v_mov_b32_e32 v2, s9
	global_store_dwordx2 v0, v[1:2], s[2:3]
.LBB0_678:                              ;   Parent Loop BB0_1 Depth=1
                                        ; =>  This Inner Loop Header: Depth=2
	global_load_dwordx2 v[1:2], v0, s[0:1] glc
	s_waitcnt vmcnt(0)
	v_cmp_ne_u64_e32 vcc, s[8:9], v[1:2]
	s_cbranch_vccnz .LBB0_678
; %bb.679:                              ;   in Loop: Header=BB0_1 Depth=1
	s_add_i32 s8, s4, 0x153
	s_mov_b32 s9, s5
	v_mov_b32_e32 v1, s8
	v_mov_b32_e32 v2, s9
	global_store_dwordx2 v0, v[1:2], s[2:3]
.LBB0_680:                              ;   Parent Loop BB0_1 Depth=1
                                        ; =>  This Inner Loop Header: Depth=2
	global_load_dwordx2 v[1:2], v0, s[0:1] glc
	s_waitcnt vmcnt(0)
	v_cmp_ne_u64_e32 vcc, s[8:9], v[1:2]
	s_cbranch_vccnz .LBB0_680
; %bb.681:                              ;   in Loop: Header=BB0_1 Depth=1
	s_add_i32 s8, s4, 0x154
	s_mov_b32 s9, s5
	v_mov_b32_e32 v1, s8
	v_mov_b32_e32 v2, s9
	global_store_dwordx2 v0, v[1:2], s[2:3]
.LBB0_682:                              ;   Parent Loop BB0_1 Depth=1
                                        ; =>  This Inner Loop Header: Depth=2
	global_load_dwordx2 v[1:2], v0, s[0:1] glc
	s_waitcnt vmcnt(0)
	v_cmp_ne_u64_e32 vcc, s[8:9], v[1:2]
	s_cbranch_vccnz .LBB0_682
; %bb.683:                              ;   in Loop: Header=BB0_1 Depth=1
	s_add_i32 s8, s4, 0x155
	s_mov_b32 s9, s5
	v_mov_b32_e32 v1, s8
	v_mov_b32_e32 v2, s9
	global_store_dwordx2 v0, v[1:2], s[2:3]
.LBB0_684:                              ;   Parent Loop BB0_1 Depth=1
                                        ; =>  This Inner Loop Header: Depth=2
	global_load_dwordx2 v[1:2], v0, s[0:1] glc
	s_waitcnt vmcnt(0)
	v_cmp_ne_u64_e32 vcc, s[8:9], v[1:2]
	s_cbranch_vccnz .LBB0_684
; %bb.685:                              ;   in Loop: Header=BB0_1 Depth=1
	s_add_i32 s8, s4, 0x156
	s_mov_b32 s9, s5
	v_mov_b32_e32 v1, s8
	v_mov_b32_e32 v2, s9
	global_store_dwordx2 v0, v[1:2], s[2:3]
.LBB0_686:                              ;   Parent Loop BB0_1 Depth=1
                                        ; =>  This Inner Loop Header: Depth=2
	global_load_dwordx2 v[1:2], v0, s[0:1] glc
	s_waitcnt vmcnt(0)
	v_cmp_ne_u64_e32 vcc, s[8:9], v[1:2]
	s_cbranch_vccnz .LBB0_686
; %bb.687:                              ;   in Loop: Header=BB0_1 Depth=1
	s_add_i32 s8, s4, 0x157
	s_mov_b32 s9, s5
	v_mov_b32_e32 v1, s8
	v_mov_b32_e32 v2, s9
	global_store_dwordx2 v0, v[1:2], s[2:3]
.LBB0_688:                              ;   Parent Loop BB0_1 Depth=1
                                        ; =>  This Inner Loop Header: Depth=2
	global_load_dwordx2 v[1:2], v0, s[0:1] glc
	s_waitcnt vmcnt(0)
	v_cmp_ne_u64_e32 vcc, s[8:9], v[1:2]
	s_cbranch_vccnz .LBB0_688
; %bb.689:                              ;   in Loop: Header=BB0_1 Depth=1
	s_add_i32 s8, s4, 0x158
	s_mov_b32 s9, s5
	v_mov_b32_e32 v1, s8
	v_mov_b32_e32 v2, s9
	global_store_dwordx2 v0, v[1:2], s[2:3]
.LBB0_690:                              ;   Parent Loop BB0_1 Depth=1
                                        ; =>  This Inner Loop Header: Depth=2
	global_load_dwordx2 v[1:2], v0, s[0:1] glc
	s_waitcnt vmcnt(0)
	v_cmp_ne_u64_e32 vcc, s[8:9], v[1:2]
	s_cbranch_vccnz .LBB0_690
; %bb.691:                              ;   in Loop: Header=BB0_1 Depth=1
	s_add_i32 s8, s4, 0x159
	s_mov_b32 s9, s5
	v_mov_b32_e32 v1, s8
	v_mov_b32_e32 v2, s9
	global_store_dwordx2 v0, v[1:2], s[2:3]
.LBB0_692:                              ;   Parent Loop BB0_1 Depth=1
                                        ; =>  This Inner Loop Header: Depth=2
	global_load_dwordx2 v[1:2], v0, s[0:1] glc
	s_waitcnt vmcnt(0)
	v_cmp_ne_u64_e32 vcc, s[8:9], v[1:2]
	s_cbranch_vccnz .LBB0_692
; %bb.693:                              ;   in Loop: Header=BB0_1 Depth=1
	s_add_i32 s8, s4, 0x15a
	s_mov_b32 s9, s5
	v_mov_b32_e32 v1, s8
	v_mov_b32_e32 v2, s9
	global_store_dwordx2 v0, v[1:2], s[2:3]
.LBB0_694:                              ;   Parent Loop BB0_1 Depth=1
                                        ; =>  This Inner Loop Header: Depth=2
	global_load_dwordx2 v[1:2], v0, s[0:1] glc
	s_waitcnt vmcnt(0)
	v_cmp_ne_u64_e32 vcc, s[8:9], v[1:2]
	s_cbranch_vccnz .LBB0_694
; %bb.695:                              ;   in Loop: Header=BB0_1 Depth=1
	s_add_i32 s8, s4, 0x15b
	s_mov_b32 s9, s5
	v_mov_b32_e32 v1, s8
	v_mov_b32_e32 v2, s9
	global_store_dwordx2 v0, v[1:2], s[2:3]
.LBB0_696:                              ;   Parent Loop BB0_1 Depth=1
                                        ; =>  This Inner Loop Header: Depth=2
	global_load_dwordx2 v[1:2], v0, s[0:1] glc
	s_waitcnt vmcnt(0)
	v_cmp_ne_u64_e32 vcc, s[8:9], v[1:2]
	s_cbranch_vccnz .LBB0_696
; %bb.697:                              ;   in Loop: Header=BB0_1 Depth=1
	s_add_i32 s8, s4, 0x15c
	s_mov_b32 s9, s5
	v_mov_b32_e32 v1, s8
	v_mov_b32_e32 v2, s9
	global_store_dwordx2 v0, v[1:2], s[2:3]
.LBB0_698:                              ;   Parent Loop BB0_1 Depth=1
                                        ; =>  This Inner Loop Header: Depth=2
	global_load_dwordx2 v[1:2], v0, s[0:1] glc
	s_waitcnt vmcnt(0)
	v_cmp_ne_u64_e32 vcc, s[8:9], v[1:2]
	s_cbranch_vccnz .LBB0_698
; %bb.699:                              ;   in Loop: Header=BB0_1 Depth=1
	s_add_i32 s8, s4, 0x15d
	s_mov_b32 s9, s5
	v_mov_b32_e32 v1, s8
	v_mov_b32_e32 v2, s9
	global_store_dwordx2 v0, v[1:2], s[2:3]
.LBB0_700:                              ;   Parent Loop BB0_1 Depth=1
                                        ; =>  This Inner Loop Header: Depth=2
	global_load_dwordx2 v[1:2], v0, s[0:1] glc
	s_waitcnt vmcnt(0)
	v_cmp_ne_u64_e32 vcc, s[8:9], v[1:2]
	s_cbranch_vccnz .LBB0_700
; %bb.701:                              ;   in Loop: Header=BB0_1 Depth=1
	s_add_i32 s8, s4, 0x15e
	s_mov_b32 s9, s5
	v_mov_b32_e32 v1, s8
	v_mov_b32_e32 v2, s9
	global_store_dwordx2 v0, v[1:2], s[2:3]
.LBB0_702:                              ;   Parent Loop BB0_1 Depth=1
                                        ; =>  This Inner Loop Header: Depth=2
	global_load_dwordx2 v[1:2], v0, s[0:1] glc
	s_waitcnt vmcnt(0)
	v_cmp_ne_u64_e32 vcc, s[8:9], v[1:2]
	s_cbranch_vccnz .LBB0_702
; %bb.703:                              ;   in Loop: Header=BB0_1 Depth=1
	s_add_i32 s8, s4, 0x15f
	s_mov_b32 s9, s5
	v_mov_b32_e32 v1, s8
	v_mov_b32_e32 v2, s9
	global_store_dwordx2 v0, v[1:2], s[2:3]
.LBB0_704:                              ;   Parent Loop BB0_1 Depth=1
                                        ; =>  This Inner Loop Header: Depth=2
	global_load_dwordx2 v[1:2], v0, s[0:1] glc
	s_waitcnt vmcnt(0)
	v_cmp_ne_u64_e32 vcc, s[8:9], v[1:2]
	s_cbranch_vccnz .LBB0_704
; %bb.705:                              ;   in Loop: Header=BB0_1 Depth=1
	s_add_i32 s8, s4, 0x160
	s_mov_b32 s9, s5
	v_mov_b32_e32 v1, s8
	v_mov_b32_e32 v2, s9
	global_store_dwordx2 v0, v[1:2], s[2:3]
.LBB0_706:                              ;   Parent Loop BB0_1 Depth=1
                                        ; =>  This Inner Loop Header: Depth=2
	global_load_dwordx2 v[1:2], v0, s[0:1] glc
	s_waitcnt vmcnt(0)
	v_cmp_ne_u64_e32 vcc, s[8:9], v[1:2]
	s_cbranch_vccnz .LBB0_706
; %bb.707:                              ;   in Loop: Header=BB0_1 Depth=1
	s_add_i32 s8, s4, 0x161
	s_mov_b32 s9, s5
	v_mov_b32_e32 v1, s8
	v_mov_b32_e32 v2, s9
	global_store_dwordx2 v0, v[1:2], s[2:3]
.LBB0_708:                              ;   Parent Loop BB0_1 Depth=1
                                        ; =>  This Inner Loop Header: Depth=2
	global_load_dwordx2 v[1:2], v0, s[0:1] glc
	s_waitcnt vmcnt(0)
	v_cmp_ne_u64_e32 vcc, s[8:9], v[1:2]
	s_cbranch_vccnz .LBB0_708
; %bb.709:                              ;   in Loop: Header=BB0_1 Depth=1
	s_add_i32 s8, s4, 0x162
	s_mov_b32 s9, s5
	v_mov_b32_e32 v1, s8
	v_mov_b32_e32 v2, s9
	global_store_dwordx2 v0, v[1:2], s[2:3]
.LBB0_710:                              ;   Parent Loop BB0_1 Depth=1
                                        ; =>  This Inner Loop Header: Depth=2
	global_load_dwordx2 v[1:2], v0, s[0:1] glc
	s_waitcnt vmcnt(0)
	v_cmp_ne_u64_e32 vcc, s[8:9], v[1:2]
	s_cbranch_vccnz .LBB0_710
; %bb.711:                              ;   in Loop: Header=BB0_1 Depth=1
	s_add_i32 s8, s4, 0x163
	s_mov_b32 s9, s5
	v_mov_b32_e32 v1, s8
	v_mov_b32_e32 v2, s9
	global_store_dwordx2 v0, v[1:2], s[2:3]
.LBB0_712:                              ;   Parent Loop BB0_1 Depth=1
                                        ; =>  This Inner Loop Header: Depth=2
	global_load_dwordx2 v[1:2], v0, s[0:1] glc
	s_waitcnt vmcnt(0)
	v_cmp_ne_u64_e32 vcc, s[8:9], v[1:2]
	s_cbranch_vccnz .LBB0_712
; %bb.713:                              ;   in Loop: Header=BB0_1 Depth=1
	s_add_i32 s8, s4, 0x164
	s_mov_b32 s9, s5
	v_mov_b32_e32 v1, s8
	v_mov_b32_e32 v2, s9
	global_store_dwordx2 v0, v[1:2], s[2:3]
.LBB0_714:                              ;   Parent Loop BB0_1 Depth=1
                                        ; =>  This Inner Loop Header: Depth=2
	global_load_dwordx2 v[1:2], v0, s[0:1] glc
	s_waitcnt vmcnt(0)
	v_cmp_ne_u64_e32 vcc, s[8:9], v[1:2]
	s_cbranch_vccnz .LBB0_714
; %bb.715:                              ;   in Loop: Header=BB0_1 Depth=1
	s_add_i32 s8, s4, 0x165
	s_mov_b32 s9, s5
	v_mov_b32_e32 v1, s8
	v_mov_b32_e32 v2, s9
	global_store_dwordx2 v0, v[1:2], s[2:3]
.LBB0_716:                              ;   Parent Loop BB0_1 Depth=1
                                        ; =>  This Inner Loop Header: Depth=2
	global_load_dwordx2 v[1:2], v0, s[0:1] glc
	s_waitcnt vmcnt(0)
	v_cmp_ne_u64_e32 vcc, s[8:9], v[1:2]
	s_cbranch_vccnz .LBB0_716
; %bb.717:                              ;   in Loop: Header=BB0_1 Depth=1
	s_add_i32 s8, s4, 0x166
	s_mov_b32 s9, s5
	v_mov_b32_e32 v1, s8
	v_mov_b32_e32 v2, s9
	global_store_dwordx2 v0, v[1:2], s[2:3]
.LBB0_718:                              ;   Parent Loop BB0_1 Depth=1
                                        ; =>  This Inner Loop Header: Depth=2
	global_load_dwordx2 v[1:2], v0, s[0:1] glc
	s_waitcnt vmcnt(0)
	v_cmp_ne_u64_e32 vcc, s[8:9], v[1:2]
	s_cbranch_vccnz .LBB0_718
; %bb.719:                              ;   in Loop: Header=BB0_1 Depth=1
	s_add_i32 s8, s4, 0x167
	s_mov_b32 s9, s5
	v_mov_b32_e32 v1, s8
	v_mov_b32_e32 v2, s9
	global_store_dwordx2 v0, v[1:2], s[2:3]
.LBB0_720:                              ;   Parent Loop BB0_1 Depth=1
                                        ; =>  This Inner Loop Header: Depth=2
	global_load_dwordx2 v[1:2], v0, s[0:1] glc
	s_waitcnt vmcnt(0)
	v_cmp_ne_u64_e32 vcc, s[8:9], v[1:2]
	s_cbranch_vccnz .LBB0_720
; %bb.721:                              ;   in Loop: Header=BB0_1 Depth=1
	s_add_i32 s8, s4, 0x168
	s_mov_b32 s9, s5
	v_mov_b32_e32 v1, s8
	v_mov_b32_e32 v2, s9
	global_store_dwordx2 v0, v[1:2], s[2:3]
.LBB0_722:                              ;   Parent Loop BB0_1 Depth=1
                                        ; =>  This Inner Loop Header: Depth=2
	global_load_dwordx2 v[1:2], v0, s[0:1] glc
	s_waitcnt vmcnt(0)
	v_cmp_ne_u64_e32 vcc, s[8:9], v[1:2]
	s_cbranch_vccnz .LBB0_722
; %bb.723:                              ;   in Loop: Header=BB0_1 Depth=1
	s_add_i32 s8, s4, 0x169
	s_mov_b32 s9, s5
	v_mov_b32_e32 v1, s8
	v_mov_b32_e32 v2, s9
	global_store_dwordx2 v0, v[1:2], s[2:3]
.LBB0_724:                              ;   Parent Loop BB0_1 Depth=1
                                        ; =>  This Inner Loop Header: Depth=2
	global_load_dwordx2 v[1:2], v0, s[0:1] glc
	s_waitcnt vmcnt(0)
	v_cmp_ne_u64_e32 vcc, s[8:9], v[1:2]
	s_cbranch_vccnz .LBB0_724
; %bb.725:                              ;   in Loop: Header=BB0_1 Depth=1
	s_add_i32 s8, s4, 0x16a
	s_mov_b32 s9, s5
	v_mov_b32_e32 v1, s8
	v_mov_b32_e32 v2, s9
	global_store_dwordx2 v0, v[1:2], s[2:3]
.LBB0_726:                              ;   Parent Loop BB0_1 Depth=1
                                        ; =>  This Inner Loop Header: Depth=2
	global_load_dwordx2 v[1:2], v0, s[0:1] glc
	s_waitcnt vmcnt(0)
	v_cmp_ne_u64_e32 vcc, s[8:9], v[1:2]
	s_cbranch_vccnz .LBB0_726
; %bb.727:                              ;   in Loop: Header=BB0_1 Depth=1
	s_add_i32 s8, s4, 0x16b
	s_mov_b32 s9, s5
	v_mov_b32_e32 v1, s8
	v_mov_b32_e32 v2, s9
	global_store_dwordx2 v0, v[1:2], s[2:3]
.LBB0_728:                              ;   Parent Loop BB0_1 Depth=1
                                        ; =>  This Inner Loop Header: Depth=2
	global_load_dwordx2 v[1:2], v0, s[0:1] glc
	s_waitcnt vmcnt(0)
	v_cmp_ne_u64_e32 vcc, s[8:9], v[1:2]
	s_cbranch_vccnz .LBB0_728
; %bb.729:                              ;   in Loop: Header=BB0_1 Depth=1
	s_add_i32 s8, s4, 0x16c
	s_mov_b32 s9, s5
	v_mov_b32_e32 v1, s8
	v_mov_b32_e32 v2, s9
	global_store_dwordx2 v0, v[1:2], s[2:3]
.LBB0_730:                              ;   Parent Loop BB0_1 Depth=1
                                        ; =>  This Inner Loop Header: Depth=2
	global_load_dwordx2 v[1:2], v0, s[0:1] glc
	s_waitcnt vmcnt(0)
	v_cmp_ne_u64_e32 vcc, s[8:9], v[1:2]
	s_cbranch_vccnz .LBB0_730
; %bb.731:                              ;   in Loop: Header=BB0_1 Depth=1
	s_add_i32 s8, s4, 0x16d
	s_mov_b32 s9, s5
	v_mov_b32_e32 v1, s8
	v_mov_b32_e32 v2, s9
	global_store_dwordx2 v0, v[1:2], s[2:3]
.LBB0_732:                              ;   Parent Loop BB0_1 Depth=1
                                        ; =>  This Inner Loop Header: Depth=2
	global_load_dwordx2 v[1:2], v0, s[0:1] glc
	s_waitcnt vmcnt(0)
	v_cmp_ne_u64_e32 vcc, s[8:9], v[1:2]
	s_cbranch_vccnz .LBB0_732
; %bb.733:                              ;   in Loop: Header=BB0_1 Depth=1
	s_add_i32 s8, s4, 0x16e
	s_mov_b32 s9, s5
	v_mov_b32_e32 v1, s8
	v_mov_b32_e32 v2, s9
	global_store_dwordx2 v0, v[1:2], s[2:3]
.LBB0_734:                              ;   Parent Loop BB0_1 Depth=1
                                        ; =>  This Inner Loop Header: Depth=2
	global_load_dwordx2 v[1:2], v0, s[0:1] glc
	s_waitcnt vmcnt(0)
	v_cmp_ne_u64_e32 vcc, s[8:9], v[1:2]
	s_cbranch_vccnz .LBB0_734
; %bb.735:                              ;   in Loop: Header=BB0_1 Depth=1
	s_add_i32 s8, s4, 0x16f
	s_mov_b32 s9, s5
	v_mov_b32_e32 v1, s8
	v_mov_b32_e32 v2, s9
	global_store_dwordx2 v0, v[1:2], s[2:3]
.LBB0_736:                              ;   Parent Loop BB0_1 Depth=1
                                        ; =>  This Inner Loop Header: Depth=2
	global_load_dwordx2 v[1:2], v0, s[0:1] glc
	s_waitcnt vmcnt(0)
	v_cmp_ne_u64_e32 vcc, s[8:9], v[1:2]
	s_cbranch_vccnz .LBB0_736
; %bb.737:                              ;   in Loop: Header=BB0_1 Depth=1
	s_add_i32 s8, s4, 0x170
	s_mov_b32 s9, s5
	v_mov_b32_e32 v1, s8
	v_mov_b32_e32 v2, s9
	global_store_dwordx2 v0, v[1:2], s[2:3]
.LBB0_738:                              ;   Parent Loop BB0_1 Depth=1
                                        ; =>  This Inner Loop Header: Depth=2
	global_load_dwordx2 v[1:2], v0, s[0:1] glc
	s_waitcnt vmcnt(0)
	v_cmp_ne_u64_e32 vcc, s[8:9], v[1:2]
	s_cbranch_vccnz .LBB0_738
; %bb.739:                              ;   in Loop: Header=BB0_1 Depth=1
	s_add_i32 s8, s4, 0x171
	s_mov_b32 s9, s5
	v_mov_b32_e32 v1, s8
	v_mov_b32_e32 v2, s9
	global_store_dwordx2 v0, v[1:2], s[2:3]
.LBB0_740:                              ;   Parent Loop BB0_1 Depth=1
                                        ; =>  This Inner Loop Header: Depth=2
	global_load_dwordx2 v[1:2], v0, s[0:1] glc
	s_waitcnt vmcnt(0)
	v_cmp_ne_u64_e32 vcc, s[8:9], v[1:2]
	s_cbranch_vccnz .LBB0_740
; %bb.741:                              ;   in Loop: Header=BB0_1 Depth=1
	s_add_i32 s8, s4, 0x172
	s_mov_b32 s9, s5
	v_mov_b32_e32 v1, s8
	v_mov_b32_e32 v2, s9
	global_store_dwordx2 v0, v[1:2], s[2:3]
.LBB0_742:                              ;   Parent Loop BB0_1 Depth=1
                                        ; =>  This Inner Loop Header: Depth=2
	global_load_dwordx2 v[1:2], v0, s[0:1] glc
	s_waitcnt vmcnt(0)
	v_cmp_ne_u64_e32 vcc, s[8:9], v[1:2]
	s_cbranch_vccnz .LBB0_742
; %bb.743:                              ;   in Loop: Header=BB0_1 Depth=1
	s_add_i32 s8, s4, 0x173
	s_mov_b32 s9, s5
	v_mov_b32_e32 v1, s8
	v_mov_b32_e32 v2, s9
	global_store_dwordx2 v0, v[1:2], s[2:3]
.LBB0_744:                              ;   Parent Loop BB0_1 Depth=1
                                        ; =>  This Inner Loop Header: Depth=2
	global_load_dwordx2 v[1:2], v0, s[0:1] glc
	s_waitcnt vmcnt(0)
	v_cmp_ne_u64_e32 vcc, s[8:9], v[1:2]
	s_cbranch_vccnz .LBB0_744
; %bb.745:                              ;   in Loop: Header=BB0_1 Depth=1
	s_add_i32 s8, s4, 0x174
	s_mov_b32 s9, s5
	v_mov_b32_e32 v1, s8
	v_mov_b32_e32 v2, s9
	global_store_dwordx2 v0, v[1:2], s[2:3]
.LBB0_746:                              ;   Parent Loop BB0_1 Depth=1
                                        ; =>  This Inner Loop Header: Depth=2
	global_load_dwordx2 v[1:2], v0, s[0:1] glc
	s_waitcnt vmcnt(0)
	v_cmp_ne_u64_e32 vcc, s[8:9], v[1:2]
	s_cbranch_vccnz .LBB0_746
; %bb.747:                              ;   in Loop: Header=BB0_1 Depth=1
	s_add_i32 s8, s4, 0x175
	s_mov_b32 s9, s5
	v_mov_b32_e32 v1, s8
	v_mov_b32_e32 v2, s9
	global_store_dwordx2 v0, v[1:2], s[2:3]
.LBB0_748:                              ;   Parent Loop BB0_1 Depth=1
                                        ; =>  This Inner Loop Header: Depth=2
	global_load_dwordx2 v[1:2], v0, s[0:1] glc
	s_waitcnt vmcnt(0)
	v_cmp_ne_u64_e32 vcc, s[8:9], v[1:2]
	s_cbranch_vccnz .LBB0_748
; %bb.749:                              ;   in Loop: Header=BB0_1 Depth=1
	s_add_i32 s8, s4, 0x176
	s_mov_b32 s9, s5
	v_mov_b32_e32 v1, s8
	v_mov_b32_e32 v2, s9
	global_store_dwordx2 v0, v[1:2], s[2:3]
.LBB0_750:                              ;   Parent Loop BB0_1 Depth=1
                                        ; =>  This Inner Loop Header: Depth=2
	global_load_dwordx2 v[1:2], v0, s[0:1] glc
	s_waitcnt vmcnt(0)
	v_cmp_ne_u64_e32 vcc, s[8:9], v[1:2]
	s_cbranch_vccnz .LBB0_750
; %bb.751:                              ;   in Loop: Header=BB0_1 Depth=1
	s_add_i32 s8, s4, 0x177
	s_mov_b32 s9, s5
	v_mov_b32_e32 v1, s8
	v_mov_b32_e32 v2, s9
	global_store_dwordx2 v0, v[1:2], s[2:3]
.LBB0_752:                              ;   Parent Loop BB0_1 Depth=1
                                        ; =>  This Inner Loop Header: Depth=2
	global_load_dwordx2 v[1:2], v0, s[0:1] glc
	s_waitcnt vmcnt(0)
	v_cmp_ne_u64_e32 vcc, s[8:9], v[1:2]
	s_cbranch_vccnz .LBB0_752
; %bb.753:                              ;   in Loop: Header=BB0_1 Depth=1
	s_add_i32 s8, s4, 0x178
	s_mov_b32 s9, s5
	v_mov_b32_e32 v1, s8
	v_mov_b32_e32 v2, s9
	global_store_dwordx2 v0, v[1:2], s[2:3]
.LBB0_754:                              ;   Parent Loop BB0_1 Depth=1
                                        ; =>  This Inner Loop Header: Depth=2
	global_load_dwordx2 v[1:2], v0, s[0:1] glc
	s_waitcnt vmcnt(0)
	v_cmp_ne_u64_e32 vcc, s[8:9], v[1:2]
	s_cbranch_vccnz .LBB0_754
; %bb.755:                              ;   in Loop: Header=BB0_1 Depth=1
	s_add_i32 s8, s4, 0x179
	s_mov_b32 s9, s5
	v_mov_b32_e32 v1, s8
	v_mov_b32_e32 v2, s9
	global_store_dwordx2 v0, v[1:2], s[2:3]
.LBB0_756:                              ;   Parent Loop BB0_1 Depth=1
                                        ; =>  This Inner Loop Header: Depth=2
	global_load_dwordx2 v[1:2], v0, s[0:1] glc
	s_waitcnt vmcnt(0)
	v_cmp_ne_u64_e32 vcc, s[8:9], v[1:2]
	s_cbranch_vccnz .LBB0_756
; %bb.757:                              ;   in Loop: Header=BB0_1 Depth=1
	s_add_i32 s8, s4, 0x17a
	s_mov_b32 s9, s5
	v_mov_b32_e32 v1, s8
	v_mov_b32_e32 v2, s9
	global_store_dwordx2 v0, v[1:2], s[2:3]
.LBB0_758:                              ;   Parent Loop BB0_1 Depth=1
                                        ; =>  This Inner Loop Header: Depth=2
	global_load_dwordx2 v[1:2], v0, s[0:1] glc
	s_waitcnt vmcnt(0)
	v_cmp_ne_u64_e32 vcc, s[8:9], v[1:2]
	s_cbranch_vccnz .LBB0_758
; %bb.759:                              ;   in Loop: Header=BB0_1 Depth=1
	s_add_i32 s8, s4, 0x17b
	s_mov_b32 s9, s5
	v_mov_b32_e32 v1, s8
	v_mov_b32_e32 v2, s9
	global_store_dwordx2 v0, v[1:2], s[2:3]
.LBB0_760:                              ;   Parent Loop BB0_1 Depth=1
                                        ; =>  This Inner Loop Header: Depth=2
	global_load_dwordx2 v[1:2], v0, s[0:1] glc
	s_waitcnt vmcnt(0)
	v_cmp_ne_u64_e32 vcc, s[8:9], v[1:2]
	s_cbranch_vccnz .LBB0_760
; %bb.761:                              ;   in Loop: Header=BB0_1 Depth=1
	s_add_i32 s8, s4, 0x17c
	s_mov_b32 s9, s5
	v_mov_b32_e32 v1, s8
	v_mov_b32_e32 v2, s9
	global_store_dwordx2 v0, v[1:2], s[2:3]
.LBB0_762:                              ;   Parent Loop BB0_1 Depth=1
                                        ; =>  This Inner Loop Header: Depth=2
	global_load_dwordx2 v[1:2], v0, s[0:1] glc
	s_waitcnt vmcnt(0)
	v_cmp_ne_u64_e32 vcc, s[8:9], v[1:2]
	s_cbranch_vccnz .LBB0_762
; %bb.763:                              ;   in Loop: Header=BB0_1 Depth=1
	s_add_i32 s8, s4, 0x17d
	s_mov_b32 s9, s5
	v_mov_b32_e32 v1, s8
	v_mov_b32_e32 v2, s9
	global_store_dwordx2 v0, v[1:2], s[2:3]
.LBB0_764:                              ;   Parent Loop BB0_1 Depth=1
                                        ; =>  This Inner Loop Header: Depth=2
	global_load_dwordx2 v[1:2], v0, s[0:1] glc
	s_waitcnt vmcnt(0)
	v_cmp_ne_u64_e32 vcc, s[8:9], v[1:2]
	s_cbranch_vccnz .LBB0_764
; %bb.765:                              ;   in Loop: Header=BB0_1 Depth=1
	s_add_i32 s8, s4, 0x17e
	s_mov_b32 s9, s5
	v_mov_b32_e32 v1, s8
	v_mov_b32_e32 v2, s9
	global_store_dwordx2 v0, v[1:2], s[2:3]
.LBB0_766:                              ;   Parent Loop BB0_1 Depth=1
                                        ; =>  This Inner Loop Header: Depth=2
	global_load_dwordx2 v[1:2], v0, s[0:1] glc
	s_waitcnt vmcnt(0)
	v_cmp_ne_u64_e32 vcc, s[8:9], v[1:2]
	s_cbranch_vccnz .LBB0_766
; %bb.767:                              ;   in Loop: Header=BB0_1 Depth=1
	s_add_i32 s8, s4, 0x17f
	s_mov_b32 s9, s5
	v_mov_b32_e32 v1, s8
	v_mov_b32_e32 v2, s9
	global_store_dwordx2 v0, v[1:2], s[2:3]
.LBB0_768:                              ;   Parent Loop BB0_1 Depth=1
                                        ; =>  This Inner Loop Header: Depth=2
	global_load_dwordx2 v[1:2], v0, s[0:1] glc
	s_waitcnt vmcnt(0)
	v_cmp_ne_u64_e32 vcc, s[8:9], v[1:2]
	s_cbranch_vccnz .LBB0_768
; %bb.769:                              ;   in Loop: Header=BB0_1 Depth=1
	s_add_i32 s8, s4, 0x180
	s_mov_b32 s9, s5
	v_mov_b32_e32 v1, s8
	v_mov_b32_e32 v2, s9
	global_store_dwordx2 v0, v[1:2], s[2:3]
.LBB0_770:                              ;   Parent Loop BB0_1 Depth=1
                                        ; =>  This Inner Loop Header: Depth=2
	global_load_dwordx2 v[1:2], v0, s[0:1] glc
	s_waitcnt vmcnt(0)
	v_cmp_ne_u64_e32 vcc, s[8:9], v[1:2]
	s_cbranch_vccnz .LBB0_770
; %bb.771:                              ;   in Loop: Header=BB0_1 Depth=1
	s_add_i32 s8, s4, 0x181
	s_mov_b32 s9, s5
	v_mov_b32_e32 v1, s8
	v_mov_b32_e32 v2, s9
	global_store_dwordx2 v0, v[1:2], s[2:3]
.LBB0_772:                              ;   Parent Loop BB0_1 Depth=1
                                        ; =>  This Inner Loop Header: Depth=2
	global_load_dwordx2 v[1:2], v0, s[0:1] glc
	s_waitcnt vmcnt(0)
	v_cmp_ne_u64_e32 vcc, s[8:9], v[1:2]
	s_cbranch_vccnz .LBB0_772
; %bb.773:                              ;   in Loop: Header=BB0_1 Depth=1
	s_add_i32 s8, s4, 0x182
	s_mov_b32 s9, s5
	v_mov_b32_e32 v1, s8
	v_mov_b32_e32 v2, s9
	global_store_dwordx2 v0, v[1:2], s[2:3]
.LBB0_774:                              ;   Parent Loop BB0_1 Depth=1
                                        ; =>  This Inner Loop Header: Depth=2
	global_load_dwordx2 v[1:2], v0, s[0:1] glc
	s_waitcnt vmcnt(0)
	v_cmp_ne_u64_e32 vcc, s[8:9], v[1:2]
	s_cbranch_vccnz .LBB0_774
; %bb.775:                              ;   in Loop: Header=BB0_1 Depth=1
	s_add_i32 s8, s4, 0x183
	s_mov_b32 s9, s5
	v_mov_b32_e32 v1, s8
	v_mov_b32_e32 v2, s9
	global_store_dwordx2 v0, v[1:2], s[2:3]
.LBB0_776:                              ;   Parent Loop BB0_1 Depth=1
                                        ; =>  This Inner Loop Header: Depth=2
	global_load_dwordx2 v[1:2], v0, s[0:1] glc
	s_waitcnt vmcnt(0)
	v_cmp_ne_u64_e32 vcc, s[8:9], v[1:2]
	s_cbranch_vccnz .LBB0_776
; %bb.777:                              ;   in Loop: Header=BB0_1 Depth=1
	s_add_i32 s8, s4, 0x184
	s_mov_b32 s9, s5
	v_mov_b32_e32 v1, s8
	v_mov_b32_e32 v2, s9
	global_store_dwordx2 v0, v[1:2], s[2:3]
.LBB0_778:                              ;   Parent Loop BB0_1 Depth=1
                                        ; =>  This Inner Loop Header: Depth=2
	global_load_dwordx2 v[1:2], v0, s[0:1] glc
	s_waitcnt vmcnt(0)
	v_cmp_ne_u64_e32 vcc, s[8:9], v[1:2]
	s_cbranch_vccnz .LBB0_778
; %bb.779:                              ;   in Loop: Header=BB0_1 Depth=1
	s_add_i32 s8, s4, 0x185
	s_mov_b32 s9, s5
	v_mov_b32_e32 v1, s8
	v_mov_b32_e32 v2, s9
	global_store_dwordx2 v0, v[1:2], s[2:3]
.LBB0_780:                              ;   Parent Loop BB0_1 Depth=1
                                        ; =>  This Inner Loop Header: Depth=2
	global_load_dwordx2 v[1:2], v0, s[0:1] glc
	s_waitcnt vmcnt(0)
	v_cmp_ne_u64_e32 vcc, s[8:9], v[1:2]
	s_cbranch_vccnz .LBB0_780
; %bb.781:                              ;   in Loop: Header=BB0_1 Depth=1
	s_add_i32 s8, s4, 0x186
	s_mov_b32 s9, s5
	v_mov_b32_e32 v1, s8
	v_mov_b32_e32 v2, s9
	global_store_dwordx2 v0, v[1:2], s[2:3]
.LBB0_782:                              ;   Parent Loop BB0_1 Depth=1
                                        ; =>  This Inner Loop Header: Depth=2
	global_load_dwordx2 v[1:2], v0, s[0:1] glc
	s_waitcnt vmcnt(0)
	v_cmp_ne_u64_e32 vcc, s[8:9], v[1:2]
	s_cbranch_vccnz .LBB0_782
; %bb.783:                              ;   in Loop: Header=BB0_1 Depth=1
	s_add_i32 s8, s4, 0x187
	s_mov_b32 s9, s5
	v_mov_b32_e32 v1, s8
	v_mov_b32_e32 v2, s9
	global_store_dwordx2 v0, v[1:2], s[2:3]
.LBB0_784:                              ;   Parent Loop BB0_1 Depth=1
                                        ; =>  This Inner Loop Header: Depth=2
	global_load_dwordx2 v[1:2], v0, s[0:1] glc
	s_waitcnt vmcnt(0)
	v_cmp_ne_u64_e32 vcc, s[8:9], v[1:2]
	s_cbranch_vccnz .LBB0_784
; %bb.785:                              ;   in Loop: Header=BB0_1 Depth=1
	s_add_i32 s8, s4, 0x188
	s_mov_b32 s9, s5
	v_mov_b32_e32 v1, s8
	v_mov_b32_e32 v2, s9
	global_store_dwordx2 v0, v[1:2], s[2:3]
.LBB0_786:                              ;   Parent Loop BB0_1 Depth=1
                                        ; =>  This Inner Loop Header: Depth=2
	global_load_dwordx2 v[1:2], v0, s[0:1] glc
	s_waitcnt vmcnt(0)
	v_cmp_ne_u64_e32 vcc, s[8:9], v[1:2]
	s_cbranch_vccnz .LBB0_786
; %bb.787:                              ;   in Loop: Header=BB0_1 Depth=1
	s_add_i32 s8, s4, 0x189
	s_mov_b32 s9, s5
	v_mov_b32_e32 v1, s8
	v_mov_b32_e32 v2, s9
	global_store_dwordx2 v0, v[1:2], s[2:3]
.LBB0_788:                              ;   Parent Loop BB0_1 Depth=1
                                        ; =>  This Inner Loop Header: Depth=2
	global_load_dwordx2 v[1:2], v0, s[0:1] glc
	s_waitcnt vmcnt(0)
	v_cmp_ne_u64_e32 vcc, s[8:9], v[1:2]
	s_cbranch_vccnz .LBB0_788
; %bb.789:                              ;   in Loop: Header=BB0_1 Depth=1
	s_add_i32 s8, s4, 0x18a
	s_mov_b32 s9, s5
	v_mov_b32_e32 v1, s8
	v_mov_b32_e32 v2, s9
	global_store_dwordx2 v0, v[1:2], s[2:3]
.LBB0_790:                              ;   Parent Loop BB0_1 Depth=1
                                        ; =>  This Inner Loop Header: Depth=2
	global_load_dwordx2 v[1:2], v0, s[0:1] glc
	s_waitcnt vmcnt(0)
	v_cmp_ne_u64_e32 vcc, s[8:9], v[1:2]
	s_cbranch_vccnz .LBB0_790
; %bb.791:                              ;   in Loop: Header=BB0_1 Depth=1
	s_add_i32 s8, s4, 0x18b
	s_mov_b32 s9, s5
	v_mov_b32_e32 v1, s8
	v_mov_b32_e32 v2, s9
	global_store_dwordx2 v0, v[1:2], s[2:3]
.LBB0_792:                              ;   Parent Loop BB0_1 Depth=1
                                        ; =>  This Inner Loop Header: Depth=2
	global_load_dwordx2 v[1:2], v0, s[0:1] glc
	s_waitcnt vmcnt(0)
	v_cmp_ne_u64_e32 vcc, s[8:9], v[1:2]
	s_cbranch_vccnz .LBB0_792
; %bb.793:                              ;   in Loop: Header=BB0_1 Depth=1
	s_add_i32 s8, s4, 0x18c
	s_mov_b32 s9, s5
	v_mov_b32_e32 v1, s8
	v_mov_b32_e32 v2, s9
	global_store_dwordx2 v0, v[1:2], s[2:3]
.LBB0_794:                              ;   Parent Loop BB0_1 Depth=1
                                        ; =>  This Inner Loop Header: Depth=2
	global_load_dwordx2 v[1:2], v0, s[0:1] glc
	s_waitcnt vmcnt(0)
	v_cmp_ne_u64_e32 vcc, s[8:9], v[1:2]
	s_cbranch_vccnz .LBB0_794
; %bb.795:                              ;   in Loop: Header=BB0_1 Depth=1
	s_add_i32 s8, s4, 0x18d
	s_mov_b32 s9, s5
	v_mov_b32_e32 v1, s8
	v_mov_b32_e32 v2, s9
	global_store_dwordx2 v0, v[1:2], s[2:3]
.LBB0_796:                              ;   Parent Loop BB0_1 Depth=1
                                        ; =>  This Inner Loop Header: Depth=2
	global_load_dwordx2 v[1:2], v0, s[0:1] glc
	s_waitcnt vmcnt(0)
	v_cmp_ne_u64_e32 vcc, s[8:9], v[1:2]
	s_cbranch_vccnz .LBB0_796
; %bb.797:                              ;   in Loop: Header=BB0_1 Depth=1
	s_add_i32 s8, s4, 0x18e
	s_mov_b32 s9, s5
	v_mov_b32_e32 v1, s8
	v_mov_b32_e32 v2, s9
	global_store_dwordx2 v0, v[1:2], s[2:3]
.LBB0_798:                              ;   Parent Loop BB0_1 Depth=1
                                        ; =>  This Inner Loop Header: Depth=2
	global_load_dwordx2 v[1:2], v0, s[0:1] glc
	s_waitcnt vmcnt(0)
	v_cmp_ne_u64_e32 vcc, s[8:9], v[1:2]
	s_cbranch_vccnz .LBB0_798
; %bb.799:                              ;   in Loop: Header=BB0_1 Depth=1
	s_add_i32 s8, s4, 0x18f
	s_mov_b32 s9, s5
	v_mov_b32_e32 v1, s8
	v_mov_b32_e32 v2, s9
	global_store_dwordx2 v0, v[1:2], s[2:3]
.LBB0_800:                              ;   Parent Loop BB0_1 Depth=1
                                        ; =>  This Inner Loop Header: Depth=2
	global_load_dwordx2 v[1:2], v0, s[0:1] glc
	s_waitcnt vmcnt(0)
	v_cmp_ne_u64_e32 vcc, s[8:9], v[1:2]
	s_cbranch_vccnz .LBB0_800
; %bb.801:                              ;   in Loop: Header=BB0_1 Depth=1
	s_add_i32 s8, s4, 0x190
	s_mov_b32 s9, s5
	v_mov_b32_e32 v1, s8
	v_mov_b32_e32 v2, s9
	global_store_dwordx2 v0, v[1:2], s[2:3]
.LBB0_802:                              ;   Parent Loop BB0_1 Depth=1
                                        ; =>  This Inner Loop Header: Depth=2
	global_load_dwordx2 v[1:2], v0, s[0:1] glc
	s_waitcnt vmcnt(0)
	v_cmp_ne_u64_e32 vcc, s[8:9], v[1:2]
	s_cbranch_vccnz .LBB0_802
; %bb.803:                              ;   in Loop: Header=BB0_1 Depth=1
	s_add_i32 s8, s4, 0x191
	s_mov_b32 s9, s5
	v_mov_b32_e32 v1, s8
	v_mov_b32_e32 v2, s9
	global_store_dwordx2 v0, v[1:2], s[2:3]
.LBB0_804:                              ;   Parent Loop BB0_1 Depth=1
                                        ; =>  This Inner Loop Header: Depth=2
	global_load_dwordx2 v[1:2], v0, s[0:1] glc
	s_waitcnt vmcnt(0)
	v_cmp_ne_u64_e32 vcc, s[8:9], v[1:2]
	s_cbranch_vccnz .LBB0_804
; %bb.805:                              ;   in Loop: Header=BB0_1 Depth=1
	s_add_i32 s8, s4, 0x192
	s_mov_b32 s9, s5
	v_mov_b32_e32 v1, s8
	v_mov_b32_e32 v2, s9
	global_store_dwordx2 v0, v[1:2], s[2:3]
.LBB0_806:                              ;   Parent Loop BB0_1 Depth=1
                                        ; =>  This Inner Loop Header: Depth=2
	global_load_dwordx2 v[1:2], v0, s[0:1] glc
	s_waitcnt vmcnt(0)
	v_cmp_ne_u64_e32 vcc, s[8:9], v[1:2]
	s_cbranch_vccnz .LBB0_806
; %bb.807:                              ;   in Loop: Header=BB0_1 Depth=1
	s_add_i32 s8, s4, 0x193
	s_mov_b32 s9, s5
	v_mov_b32_e32 v1, s8
	v_mov_b32_e32 v2, s9
	global_store_dwordx2 v0, v[1:2], s[2:3]
.LBB0_808:                              ;   Parent Loop BB0_1 Depth=1
                                        ; =>  This Inner Loop Header: Depth=2
	global_load_dwordx2 v[1:2], v0, s[0:1] glc
	s_waitcnt vmcnt(0)
	v_cmp_ne_u64_e32 vcc, s[8:9], v[1:2]
	s_cbranch_vccnz .LBB0_808
; %bb.809:                              ;   in Loop: Header=BB0_1 Depth=1
	s_add_i32 s8, s4, 0x194
	s_mov_b32 s9, s5
	v_mov_b32_e32 v1, s8
	v_mov_b32_e32 v2, s9
	global_store_dwordx2 v0, v[1:2], s[2:3]
.LBB0_810:                              ;   Parent Loop BB0_1 Depth=1
                                        ; =>  This Inner Loop Header: Depth=2
	global_load_dwordx2 v[1:2], v0, s[0:1] glc
	s_waitcnt vmcnt(0)
	v_cmp_ne_u64_e32 vcc, s[8:9], v[1:2]
	s_cbranch_vccnz .LBB0_810
; %bb.811:                              ;   in Loop: Header=BB0_1 Depth=1
	s_add_i32 s8, s4, 0x195
	s_mov_b32 s9, s5
	v_mov_b32_e32 v1, s8
	v_mov_b32_e32 v2, s9
	global_store_dwordx2 v0, v[1:2], s[2:3]
.LBB0_812:                              ;   Parent Loop BB0_1 Depth=1
                                        ; =>  This Inner Loop Header: Depth=2
	global_load_dwordx2 v[1:2], v0, s[0:1] glc
	s_waitcnt vmcnt(0)
	v_cmp_ne_u64_e32 vcc, s[8:9], v[1:2]
	s_cbranch_vccnz .LBB0_812
; %bb.813:                              ;   in Loop: Header=BB0_1 Depth=1
	s_add_i32 s8, s4, 0x196
	s_mov_b32 s9, s5
	v_mov_b32_e32 v1, s8
	v_mov_b32_e32 v2, s9
	global_store_dwordx2 v0, v[1:2], s[2:3]
.LBB0_814:                              ;   Parent Loop BB0_1 Depth=1
                                        ; =>  This Inner Loop Header: Depth=2
	global_load_dwordx2 v[1:2], v0, s[0:1] glc
	s_waitcnt vmcnt(0)
	v_cmp_ne_u64_e32 vcc, s[8:9], v[1:2]
	s_cbranch_vccnz .LBB0_814
; %bb.815:                              ;   in Loop: Header=BB0_1 Depth=1
	s_add_i32 s8, s4, 0x197
	s_mov_b32 s9, s5
	v_mov_b32_e32 v1, s8
	v_mov_b32_e32 v2, s9
	global_store_dwordx2 v0, v[1:2], s[2:3]
.LBB0_816:                              ;   Parent Loop BB0_1 Depth=1
                                        ; =>  This Inner Loop Header: Depth=2
	global_load_dwordx2 v[1:2], v0, s[0:1] glc
	s_waitcnt vmcnt(0)
	v_cmp_ne_u64_e32 vcc, s[8:9], v[1:2]
	s_cbranch_vccnz .LBB0_816
; %bb.817:                              ;   in Loop: Header=BB0_1 Depth=1
	s_add_i32 s8, s4, 0x198
	s_mov_b32 s9, s5
	v_mov_b32_e32 v1, s8
	v_mov_b32_e32 v2, s9
	global_store_dwordx2 v0, v[1:2], s[2:3]
.LBB0_818:                              ;   Parent Loop BB0_1 Depth=1
                                        ; =>  This Inner Loop Header: Depth=2
	global_load_dwordx2 v[1:2], v0, s[0:1] glc
	s_waitcnt vmcnt(0)
	v_cmp_ne_u64_e32 vcc, s[8:9], v[1:2]
	s_cbranch_vccnz .LBB0_818
; %bb.819:                              ;   in Loop: Header=BB0_1 Depth=1
	s_add_i32 s8, s4, 0x199
	s_mov_b32 s9, s5
	v_mov_b32_e32 v1, s8
	v_mov_b32_e32 v2, s9
	global_store_dwordx2 v0, v[1:2], s[2:3]
.LBB0_820:                              ;   Parent Loop BB0_1 Depth=1
                                        ; =>  This Inner Loop Header: Depth=2
	global_load_dwordx2 v[1:2], v0, s[0:1] glc
	s_waitcnt vmcnt(0)
	v_cmp_ne_u64_e32 vcc, s[8:9], v[1:2]
	s_cbranch_vccnz .LBB0_820
; %bb.821:                              ;   in Loop: Header=BB0_1 Depth=1
	s_add_i32 s8, s4, 0x19a
	s_mov_b32 s9, s5
	v_mov_b32_e32 v1, s8
	v_mov_b32_e32 v2, s9
	global_store_dwordx2 v0, v[1:2], s[2:3]
.LBB0_822:                              ;   Parent Loop BB0_1 Depth=1
                                        ; =>  This Inner Loop Header: Depth=2
	global_load_dwordx2 v[1:2], v0, s[0:1] glc
	s_waitcnt vmcnt(0)
	v_cmp_ne_u64_e32 vcc, s[8:9], v[1:2]
	s_cbranch_vccnz .LBB0_822
; %bb.823:                              ;   in Loop: Header=BB0_1 Depth=1
	s_add_i32 s8, s4, 0x19b
	s_mov_b32 s9, s5
	v_mov_b32_e32 v1, s8
	v_mov_b32_e32 v2, s9
	global_store_dwordx2 v0, v[1:2], s[2:3]
.LBB0_824:                              ;   Parent Loop BB0_1 Depth=1
                                        ; =>  This Inner Loop Header: Depth=2
	global_load_dwordx2 v[1:2], v0, s[0:1] glc
	s_waitcnt vmcnt(0)
	v_cmp_ne_u64_e32 vcc, s[8:9], v[1:2]
	s_cbranch_vccnz .LBB0_824
; %bb.825:                              ;   in Loop: Header=BB0_1 Depth=1
	s_add_i32 s8, s4, 0x19c
	s_mov_b32 s9, s5
	v_mov_b32_e32 v1, s8
	v_mov_b32_e32 v2, s9
	global_store_dwordx2 v0, v[1:2], s[2:3]
.LBB0_826:                              ;   Parent Loop BB0_1 Depth=1
                                        ; =>  This Inner Loop Header: Depth=2
	global_load_dwordx2 v[1:2], v0, s[0:1] glc
	s_waitcnt vmcnt(0)
	v_cmp_ne_u64_e32 vcc, s[8:9], v[1:2]
	s_cbranch_vccnz .LBB0_826
; %bb.827:                              ;   in Loop: Header=BB0_1 Depth=1
	s_add_i32 s8, s4, 0x19d
	s_mov_b32 s9, s5
	v_mov_b32_e32 v1, s8
	v_mov_b32_e32 v2, s9
	global_store_dwordx2 v0, v[1:2], s[2:3]
.LBB0_828:                              ;   Parent Loop BB0_1 Depth=1
                                        ; =>  This Inner Loop Header: Depth=2
	global_load_dwordx2 v[1:2], v0, s[0:1] glc
	s_waitcnt vmcnt(0)
	v_cmp_ne_u64_e32 vcc, s[8:9], v[1:2]
	s_cbranch_vccnz .LBB0_828
; %bb.829:                              ;   in Loop: Header=BB0_1 Depth=1
	s_add_i32 s8, s4, 0x19e
	s_mov_b32 s9, s5
	v_mov_b32_e32 v1, s8
	v_mov_b32_e32 v2, s9
	global_store_dwordx2 v0, v[1:2], s[2:3]
.LBB0_830:                              ;   Parent Loop BB0_1 Depth=1
                                        ; =>  This Inner Loop Header: Depth=2
	global_load_dwordx2 v[1:2], v0, s[0:1] glc
	s_waitcnt vmcnt(0)
	v_cmp_ne_u64_e32 vcc, s[8:9], v[1:2]
	s_cbranch_vccnz .LBB0_830
; %bb.831:                              ;   in Loop: Header=BB0_1 Depth=1
	s_add_i32 s8, s4, 0x19f
	s_mov_b32 s9, s5
	v_mov_b32_e32 v1, s8
	v_mov_b32_e32 v2, s9
	global_store_dwordx2 v0, v[1:2], s[2:3]
.LBB0_832:                              ;   Parent Loop BB0_1 Depth=1
                                        ; =>  This Inner Loop Header: Depth=2
	global_load_dwordx2 v[1:2], v0, s[0:1] glc
	s_waitcnt vmcnt(0)
	v_cmp_ne_u64_e32 vcc, s[8:9], v[1:2]
	s_cbranch_vccnz .LBB0_832
; %bb.833:                              ;   in Loop: Header=BB0_1 Depth=1
	s_add_i32 s8, s4, 0x1a0
	s_mov_b32 s9, s5
	v_mov_b32_e32 v1, s8
	v_mov_b32_e32 v2, s9
	global_store_dwordx2 v0, v[1:2], s[2:3]
.LBB0_834:                              ;   Parent Loop BB0_1 Depth=1
                                        ; =>  This Inner Loop Header: Depth=2
	global_load_dwordx2 v[1:2], v0, s[0:1] glc
	s_waitcnt vmcnt(0)
	v_cmp_ne_u64_e32 vcc, s[8:9], v[1:2]
	s_cbranch_vccnz .LBB0_834
; %bb.835:                              ;   in Loop: Header=BB0_1 Depth=1
	s_add_i32 s8, s4, 0x1a1
	s_mov_b32 s9, s5
	v_mov_b32_e32 v1, s8
	v_mov_b32_e32 v2, s9
	global_store_dwordx2 v0, v[1:2], s[2:3]
.LBB0_836:                              ;   Parent Loop BB0_1 Depth=1
                                        ; =>  This Inner Loop Header: Depth=2
	global_load_dwordx2 v[1:2], v0, s[0:1] glc
	s_waitcnt vmcnt(0)
	v_cmp_ne_u64_e32 vcc, s[8:9], v[1:2]
	s_cbranch_vccnz .LBB0_836
; %bb.837:                              ;   in Loop: Header=BB0_1 Depth=1
	s_add_i32 s8, s4, 0x1a2
	s_mov_b32 s9, s5
	v_mov_b32_e32 v1, s8
	v_mov_b32_e32 v2, s9
	global_store_dwordx2 v0, v[1:2], s[2:3]
.LBB0_838:                              ;   Parent Loop BB0_1 Depth=1
                                        ; =>  This Inner Loop Header: Depth=2
	global_load_dwordx2 v[1:2], v0, s[0:1] glc
	s_waitcnt vmcnt(0)
	v_cmp_ne_u64_e32 vcc, s[8:9], v[1:2]
	s_cbranch_vccnz .LBB0_838
; %bb.839:                              ;   in Loop: Header=BB0_1 Depth=1
	s_add_i32 s8, s4, 0x1a3
	s_mov_b32 s9, s5
	v_mov_b32_e32 v1, s8
	v_mov_b32_e32 v2, s9
	global_store_dwordx2 v0, v[1:2], s[2:3]
.LBB0_840:                              ;   Parent Loop BB0_1 Depth=1
                                        ; =>  This Inner Loop Header: Depth=2
	global_load_dwordx2 v[1:2], v0, s[0:1] glc
	s_waitcnt vmcnt(0)
	v_cmp_ne_u64_e32 vcc, s[8:9], v[1:2]
	s_cbranch_vccnz .LBB0_840
; %bb.841:                              ;   in Loop: Header=BB0_1 Depth=1
	s_add_i32 s8, s4, 0x1a4
	s_mov_b32 s9, s5
	v_mov_b32_e32 v1, s8
	v_mov_b32_e32 v2, s9
	global_store_dwordx2 v0, v[1:2], s[2:3]
.LBB0_842:                              ;   Parent Loop BB0_1 Depth=1
                                        ; =>  This Inner Loop Header: Depth=2
	global_load_dwordx2 v[1:2], v0, s[0:1] glc
	s_waitcnt vmcnt(0)
	v_cmp_ne_u64_e32 vcc, s[8:9], v[1:2]
	s_cbranch_vccnz .LBB0_842
; %bb.843:                              ;   in Loop: Header=BB0_1 Depth=1
	s_add_i32 s8, s4, 0x1a5
	s_mov_b32 s9, s5
	v_mov_b32_e32 v1, s8
	v_mov_b32_e32 v2, s9
	global_store_dwordx2 v0, v[1:2], s[2:3]
.LBB0_844:                              ;   Parent Loop BB0_1 Depth=1
                                        ; =>  This Inner Loop Header: Depth=2
	global_load_dwordx2 v[1:2], v0, s[0:1] glc
	s_waitcnt vmcnt(0)
	v_cmp_ne_u64_e32 vcc, s[8:9], v[1:2]
	s_cbranch_vccnz .LBB0_844
; %bb.845:                              ;   in Loop: Header=BB0_1 Depth=1
	s_add_i32 s8, s4, 0x1a6
	s_mov_b32 s9, s5
	v_mov_b32_e32 v1, s8
	v_mov_b32_e32 v2, s9
	global_store_dwordx2 v0, v[1:2], s[2:3]
.LBB0_846:                              ;   Parent Loop BB0_1 Depth=1
                                        ; =>  This Inner Loop Header: Depth=2
	global_load_dwordx2 v[1:2], v0, s[0:1] glc
	s_waitcnt vmcnt(0)
	v_cmp_ne_u64_e32 vcc, s[8:9], v[1:2]
	s_cbranch_vccnz .LBB0_846
; %bb.847:                              ;   in Loop: Header=BB0_1 Depth=1
	s_add_i32 s8, s4, 0x1a7
	s_mov_b32 s9, s5
	v_mov_b32_e32 v1, s8
	v_mov_b32_e32 v2, s9
	global_store_dwordx2 v0, v[1:2], s[2:3]
.LBB0_848:                              ;   Parent Loop BB0_1 Depth=1
                                        ; =>  This Inner Loop Header: Depth=2
	global_load_dwordx2 v[1:2], v0, s[0:1] glc
	s_waitcnt vmcnt(0)
	v_cmp_ne_u64_e32 vcc, s[8:9], v[1:2]
	s_cbranch_vccnz .LBB0_848
; %bb.849:                              ;   in Loop: Header=BB0_1 Depth=1
	s_add_i32 s8, s4, 0x1a8
	s_mov_b32 s9, s5
	v_mov_b32_e32 v1, s8
	v_mov_b32_e32 v2, s9
	global_store_dwordx2 v0, v[1:2], s[2:3]
.LBB0_850:                              ;   Parent Loop BB0_1 Depth=1
                                        ; =>  This Inner Loop Header: Depth=2
	global_load_dwordx2 v[1:2], v0, s[0:1] glc
	s_waitcnt vmcnt(0)
	v_cmp_ne_u64_e32 vcc, s[8:9], v[1:2]
	s_cbranch_vccnz .LBB0_850
; %bb.851:                              ;   in Loop: Header=BB0_1 Depth=1
	s_add_i32 s8, s4, 0x1a9
	s_mov_b32 s9, s5
	v_mov_b32_e32 v1, s8
	v_mov_b32_e32 v2, s9
	global_store_dwordx2 v0, v[1:2], s[2:3]
.LBB0_852:                              ;   Parent Loop BB0_1 Depth=1
                                        ; =>  This Inner Loop Header: Depth=2
	global_load_dwordx2 v[1:2], v0, s[0:1] glc
	s_waitcnt vmcnt(0)
	v_cmp_ne_u64_e32 vcc, s[8:9], v[1:2]
	s_cbranch_vccnz .LBB0_852
; %bb.853:                              ;   in Loop: Header=BB0_1 Depth=1
	s_add_i32 s8, s4, 0x1aa
	s_mov_b32 s9, s5
	v_mov_b32_e32 v1, s8
	v_mov_b32_e32 v2, s9
	global_store_dwordx2 v0, v[1:2], s[2:3]
.LBB0_854:                              ;   Parent Loop BB0_1 Depth=1
                                        ; =>  This Inner Loop Header: Depth=2
	global_load_dwordx2 v[1:2], v0, s[0:1] glc
	s_waitcnt vmcnt(0)
	v_cmp_ne_u64_e32 vcc, s[8:9], v[1:2]
	s_cbranch_vccnz .LBB0_854
; %bb.855:                              ;   in Loop: Header=BB0_1 Depth=1
	s_add_i32 s8, s4, 0x1ab
	s_mov_b32 s9, s5
	v_mov_b32_e32 v1, s8
	v_mov_b32_e32 v2, s9
	global_store_dwordx2 v0, v[1:2], s[2:3]
.LBB0_856:                              ;   Parent Loop BB0_1 Depth=1
                                        ; =>  This Inner Loop Header: Depth=2
	global_load_dwordx2 v[1:2], v0, s[0:1] glc
	s_waitcnt vmcnt(0)
	v_cmp_ne_u64_e32 vcc, s[8:9], v[1:2]
	s_cbranch_vccnz .LBB0_856
; %bb.857:                              ;   in Loop: Header=BB0_1 Depth=1
	s_add_i32 s8, s4, 0x1ac
	s_mov_b32 s9, s5
	v_mov_b32_e32 v1, s8
	v_mov_b32_e32 v2, s9
	global_store_dwordx2 v0, v[1:2], s[2:3]
.LBB0_858:                              ;   Parent Loop BB0_1 Depth=1
                                        ; =>  This Inner Loop Header: Depth=2
	global_load_dwordx2 v[1:2], v0, s[0:1] glc
	s_waitcnt vmcnt(0)
	v_cmp_ne_u64_e32 vcc, s[8:9], v[1:2]
	s_cbranch_vccnz .LBB0_858
; %bb.859:                              ;   in Loop: Header=BB0_1 Depth=1
	s_add_i32 s8, s4, 0x1ad
	s_mov_b32 s9, s5
	v_mov_b32_e32 v1, s8
	v_mov_b32_e32 v2, s9
	global_store_dwordx2 v0, v[1:2], s[2:3]
.LBB0_860:                              ;   Parent Loop BB0_1 Depth=1
                                        ; =>  This Inner Loop Header: Depth=2
	global_load_dwordx2 v[1:2], v0, s[0:1] glc
	s_waitcnt vmcnt(0)
	v_cmp_ne_u64_e32 vcc, s[8:9], v[1:2]
	s_cbranch_vccnz .LBB0_860
; %bb.861:                              ;   in Loop: Header=BB0_1 Depth=1
	s_add_i32 s8, s4, 0x1ae
	s_mov_b32 s9, s5
	v_mov_b32_e32 v1, s8
	v_mov_b32_e32 v2, s9
	global_store_dwordx2 v0, v[1:2], s[2:3]
.LBB0_862:                              ;   Parent Loop BB0_1 Depth=1
                                        ; =>  This Inner Loop Header: Depth=2
	global_load_dwordx2 v[1:2], v0, s[0:1] glc
	s_waitcnt vmcnt(0)
	v_cmp_ne_u64_e32 vcc, s[8:9], v[1:2]
	s_cbranch_vccnz .LBB0_862
; %bb.863:                              ;   in Loop: Header=BB0_1 Depth=1
	s_add_i32 s8, s4, 0x1af
	s_mov_b32 s9, s5
	v_mov_b32_e32 v1, s8
	v_mov_b32_e32 v2, s9
	global_store_dwordx2 v0, v[1:2], s[2:3]
.LBB0_864:                              ;   Parent Loop BB0_1 Depth=1
                                        ; =>  This Inner Loop Header: Depth=2
	global_load_dwordx2 v[1:2], v0, s[0:1] glc
	s_waitcnt vmcnt(0)
	v_cmp_ne_u64_e32 vcc, s[8:9], v[1:2]
	s_cbranch_vccnz .LBB0_864
; %bb.865:                              ;   in Loop: Header=BB0_1 Depth=1
	s_add_i32 s8, s4, 0x1b0
	s_mov_b32 s9, s5
	v_mov_b32_e32 v1, s8
	v_mov_b32_e32 v2, s9
	global_store_dwordx2 v0, v[1:2], s[2:3]
.LBB0_866:                              ;   Parent Loop BB0_1 Depth=1
                                        ; =>  This Inner Loop Header: Depth=2
	global_load_dwordx2 v[1:2], v0, s[0:1] glc
	s_waitcnt vmcnt(0)
	v_cmp_ne_u64_e32 vcc, s[8:9], v[1:2]
	s_cbranch_vccnz .LBB0_866
; %bb.867:                              ;   in Loop: Header=BB0_1 Depth=1
	s_add_i32 s8, s4, 0x1b1
	s_mov_b32 s9, s5
	v_mov_b32_e32 v1, s8
	v_mov_b32_e32 v2, s9
	global_store_dwordx2 v0, v[1:2], s[2:3]
.LBB0_868:                              ;   Parent Loop BB0_1 Depth=1
                                        ; =>  This Inner Loop Header: Depth=2
	global_load_dwordx2 v[1:2], v0, s[0:1] glc
	s_waitcnt vmcnt(0)
	v_cmp_ne_u64_e32 vcc, s[8:9], v[1:2]
	s_cbranch_vccnz .LBB0_868
; %bb.869:                              ;   in Loop: Header=BB0_1 Depth=1
	s_add_i32 s8, s4, 0x1b2
	s_mov_b32 s9, s5
	v_mov_b32_e32 v1, s8
	v_mov_b32_e32 v2, s9
	global_store_dwordx2 v0, v[1:2], s[2:3]
.LBB0_870:                              ;   Parent Loop BB0_1 Depth=1
                                        ; =>  This Inner Loop Header: Depth=2
	global_load_dwordx2 v[1:2], v0, s[0:1] glc
	s_waitcnt vmcnt(0)
	v_cmp_ne_u64_e32 vcc, s[8:9], v[1:2]
	s_cbranch_vccnz .LBB0_870
; %bb.871:                              ;   in Loop: Header=BB0_1 Depth=1
	s_add_i32 s8, s4, 0x1b3
	s_mov_b32 s9, s5
	v_mov_b32_e32 v1, s8
	v_mov_b32_e32 v2, s9
	global_store_dwordx2 v0, v[1:2], s[2:3]
.LBB0_872:                              ;   Parent Loop BB0_1 Depth=1
                                        ; =>  This Inner Loop Header: Depth=2
	global_load_dwordx2 v[1:2], v0, s[0:1] glc
	s_waitcnt vmcnt(0)
	v_cmp_ne_u64_e32 vcc, s[8:9], v[1:2]
	s_cbranch_vccnz .LBB0_872
; %bb.873:                              ;   in Loop: Header=BB0_1 Depth=1
	s_add_i32 s8, s4, 0x1b4
	s_mov_b32 s9, s5
	v_mov_b32_e32 v1, s8
	v_mov_b32_e32 v2, s9
	global_store_dwordx2 v0, v[1:2], s[2:3]
.LBB0_874:                              ;   Parent Loop BB0_1 Depth=1
                                        ; =>  This Inner Loop Header: Depth=2
	global_load_dwordx2 v[1:2], v0, s[0:1] glc
	s_waitcnt vmcnt(0)
	v_cmp_ne_u64_e32 vcc, s[8:9], v[1:2]
	s_cbranch_vccnz .LBB0_874
; %bb.875:                              ;   in Loop: Header=BB0_1 Depth=1
	s_add_i32 s8, s4, 0x1b5
	s_mov_b32 s9, s5
	v_mov_b32_e32 v1, s8
	v_mov_b32_e32 v2, s9
	global_store_dwordx2 v0, v[1:2], s[2:3]
.LBB0_876:                              ;   Parent Loop BB0_1 Depth=1
                                        ; =>  This Inner Loop Header: Depth=2
	global_load_dwordx2 v[1:2], v0, s[0:1] glc
	s_waitcnt vmcnt(0)
	v_cmp_ne_u64_e32 vcc, s[8:9], v[1:2]
	s_cbranch_vccnz .LBB0_876
; %bb.877:                              ;   in Loop: Header=BB0_1 Depth=1
	s_add_i32 s8, s4, 0x1b6
	s_mov_b32 s9, s5
	v_mov_b32_e32 v1, s8
	v_mov_b32_e32 v2, s9
	global_store_dwordx2 v0, v[1:2], s[2:3]
.LBB0_878:                              ;   Parent Loop BB0_1 Depth=1
                                        ; =>  This Inner Loop Header: Depth=2
	global_load_dwordx2 v[1:2], v0, s[0:1] glc
	s_waitcnt vmcnt(0)
	v_cmp_ne_u64_e32 vcc, s[8:9], v[1:2]
	s_cbranch_vccnz .LBB0_878
; %bb.879:                              ;   in Loop: Header=BB0_1 Depth=1
	s_add_i32 s8, s4, 0x1b7
	s_mov_b32 s9, s5
	v_mov_b32_e32 v1, s8
	v_mov_b32_e32 v2, s9
	global_store_dwordx2 v0, v[1:2], s[2:3]
.LBB0_880:                              ;   Parent Loop BB0_1 Depth=1
                                        ; =>  This Inner Loop Header: Depth=2
	global_load_dwordx2 v[1:2], v0, s[0:1] glc
	s_waitcnt vmcnt(0)
	v_cmp_ne_u64_e32 vcc, s[8:9], v[1:2]
	s_cbranch_vccnz .LBB0_880
; %bb.881:                              ;   in Loop: Header=BB0_1 Depth=1
	s_add_i32 s8, s4, 0x1b8
	s_mov_b32 s9, s5
	v_mov_b32_e32 v1, s8
	v_mov_b32_e32 v2, s9
	global_store_dwordx2 v0, v[1:2], s[2:3]
.LBB0_882:                              ;   Parent Loop BB0_1 Depth=1
                                        ; =>  This Inner Loop Header: Depth=2
	global_load_dwordx2 v[1:2], v0, s[0:1] glc
	s_waitcnt vmcnt(0)
	v_cmp_ne_u64_e32 vcc, s[8:9], v[1:2]
	s_cbranch_vccnz .LBB0_882
; %bb.883:                              ;   in Loop: Header=BB0_1 Depth=1
	s_add_i32 s8, s4, 0x1b9
	s_mov_b32 s9, s5
	v_mov_b32_e32 v1, s8
	v_mov_b32_e32 v2, s9
	global_store_dwordx2 v0, v[1:2], s[2:3]
.LBB0_884:                              ;   Parent Loop BB0_1 Depth=1
                                        ; =>  This Inner Loop Header: Depth=2
	global_load_dwordx2 v[1:2], v0, s[0:1] glc
	s_waitcnt vmcnt(0)
	v_cmp_ne_u64_e32 vcc, s[8:9], v[1:2]
	s_cbranch_vccnz .LBB0_884
; %bb.885:                              ;   in Loop: Header=BB0_1 Depth=1
	s_add_i32 s8, s4, 0x1ba
	s_mov_b32 s9, s5
	v_mov_b32_e32 v1, s8
	v_mov_b32_e32 v2, s9
	global_store_dwordx2 v0, v[1:2], s[2:3]
.LBB0_886:                              ;   Parent Loop BB0_1 Depth=1
                                        ; =>  This Inner Loop Header: Depth=2
	global_load_dwordx2 v[1:2], v0, s[0:1] glc
	s_waitcnt vmcnt(0)
	v_cmp_ne_u64_e32 vcc, s[8:9], v[1:2]
	s_cbranch_vccnz .LBB0_886
; %bb.887:                              ;   in Loop: Header=BB0_1 Depth=1
	s_add_i32 s8, s4, 0x1bb
	s_mov_b32 s9, s5
	v_mov_b32_e32 v1, s8
	v_mov_b32_e32 v2, s9
	global_store_dwordx2 v0, v[1:2], s[2:3]
.LBB0_888:                              ;   Parent Loop BB0_1 Depth=1
                                        ; =>  This Inner Loop Header: Depth=2
	global_load_dwordx2 v[1:2], v0, s[0:1] glc
	s_waitcnt vmcnt(0)
	v_cmp_ne_u64_e32 vcc, s[8:9], v[1:2]
	s_cbranch_vccnz .LBB0_888
; %bb.889:                              ;   in Loop: Header=BB0_1 Depth=1
	s_add_i32 s8, s4, 0x1bc
	s_mov_b32 s9, s5
	v_mov_b32_e32 v1, s8
	v_mov_b32_e32 v2, s9
	global_store_dwordx2 v0, v[1:2], s[2:3]
.LBB0_890:                              ;   Parent Loop BB0_1 Depth=1
                                        ; =>  This Inner Loop Header: Depth=2
	global_load_dwordx2 v[1:2], v0, s[0:1] glc
	s_waitcnt vmcnt(0)
	v_cmp_ne_u64_e32 vcc, s[8:9], v[1:2]
	s_cbranch_vccnz .LBB0_890
; %bb.891:                              ;   in Loop: Header=BB0_1 Depth=1
	s_add_i32 s8, s4, 0x1bd
	s_mov_b32 s9, s5
	v_mov_b32_e32 v1, s8
	v_mov_b32_e32 v2, s9
	global_store_dwordx2 v0, v[1:2], s[2:3]
.LBB0_892:                              ;   Parent Loop BB0_1 Depth=1
                                        ; =>  This Inner Loop Header: Depth=2
	global_load_dwordx2 v[1:2], v0, s[0:1] glc
	s_waitcnt vmcnt(0)
	v_cmp_ne_u64_e32 vcc, s[8:9], v[1:2]
	s_cbranch_vccnz .LBB0_892
; %bb.893:                              ;   in Loop: Header=BB0_1 Depth=1
	s_add_i32 s8, s4, 0x1be
	s_mov_b32 s9, s5
	v_mov_b32_e32 v1, s8
	v_mov_b32_e32 v2, s9
	global_store_dwordx2 v0, v[1:2], s[2:3]
.LBB0_894:                              ;   Parent Loop BB0_1 Depth=1
                                        ; =>  This Inner Loop Header: Depth=2
	global_load_dwordx2 v[1:2], v0, s[0:1] glc
	s_waitcnt vmcnt(0)
	v_cmp_ne_u64_e32 vcc, s[8:9], v[1:2]
	s_cbranch_vccnz .LBB0_894
; %bb.895:                              ;   in Loop: Header=BB0_1 Depth=1
	s_add_i32 s8, s4, 0x1bf
	s_mov_b32 s9, s5
	v_mov_b32_e32 v1, s8
	v_mov_b32_e32 v2, s9
	global_store_dwordx2 v0, v[1:2], s[2:3]
.LBB0_896:                              ;   Parent Loop BB0_1 Depth=1
                                        ; =>  This Inner Loop Header: Depth=2
	global_load_dwordx2 v[1:2], v0, s[0:1] glc
	s_waitcnt vmcnt(0)
	v_cmp_ne_u64_e32 vcc, s[8:9], v[1:2]
	s_cbranch_vccnz .LBB0_896
; %bb.897:                              ;   in Loop: Header=BB0_1 Depth=1
	s_add_i32 s8, s4, 0x1c0
	s_mov_b32 s9, s5
	v_mov_b32_e32 v1, s8
	v_mov_b32_e32 v2, s9
	global_store_dwordx2 v0, v[1:2], s[2:3]
.LBB0_898:                              ;   Parent Loop BB0_1 Depth=1
                                        ; =>  This Inner Loop Header: Depth=2
	global_load_dwordx2 v[1:2], v0, s[0:1] glc
	s_waitcnt vmcnt(0)
	v_cmp_ne_u64_e32 vcc, s[8:9], v[1:2]
	s_cbranch_vccnz .LBB0_898
; %bb.899:                              ;   in Loop: Header=BB0_1 Depth=1
	s_add_i32 s8, s4, 0x1c1
	s_mov_b32 s9, s5
	v_mov_b32_e32 v1, s8
	v_mov_b32_e32 v2, s9
	global_store_dwordx2 v0, v[1:2], s[2:3]
.LBB0_900:                              ;   Parent Loop BB0_1 Depth=1
                                        ; =>  This Inner Loop Header: Depth=2
	global_load_dwordx2 v[1:2], v0, s[0:1] glc
	s_waitcnt vmcnt(0)
	v_cmp_ne_u64_e32 vcc, s[8:9], v[1:2]
	s_cbranch_vccnz .LBB0_900
; %bb.901:                              ;   in Loop: Header=BB0_1 Depth=1
	s_add_i32 s8, s4, 0x1c2
	s_mov_b32 s9, s5
	v_mov_b32_e32 v1, s8
	v_mov_b32_e32 v2, s9
	global_store_dwordx2 v0, v[1:2], s[2:3]
.LBB0_902:                              ;   Parent Loop BB0_1 Depth=1
                                        ; =>  This Inner Loop Header: Depth=2
	global_load_dwordx2 v[1:2], v0, s[0:1] glc
	s_waitcnt vmcnt(0)
	v_cmp_ne_u64_e32 vcc, s[8:9], v[1:2]
	s_cbranch_vccnz .LBB0_902
; %bb.903:                              ;   in Loop: Header=BB0_1 Depth=1
	s_add_i32 s8, s4, 0x1c3
	s_mov_b32 s9, s5
	v_mov_b32_e32 v1, s8
	v_mov_b32_e32 v2, s9
	global_store_dwordx2 v0, v[1:2], s[2:3]
.LBB0_904:                              ;   Parent Loop BB0_1 Depth=1
                                        ; =>  This Inner Loop Header: Depth=2
	global_load_dwordx2 v[1:2], v0, s[0:1] glc
	s_waitcnt vmcnt(0)
	v_cmp_ne_u64_e32 vcc, s[8:9], v[1:2]
	s_cbranch_vccnz .LBB0_904
; %bb.905:                              ;   in Loop: Header=BB0_1 Depth=1
	s_add_i32 s8, s4, 0x1c4
	s_mov_b32 s9, s5
	v_mov_b32_e32 v1, s8
	v_mov_b32_e32 v2, s9
	global_store_dwordx2 v0, v[1:2], s[2:3]
.LBB0_906:                              ;   Parent Loop BB0_1 Depth=1
                                        ; =>  This Inner Loop Header: Depth=2
	global_load_dwordx2 v[1:2], v0, s[0:1] glc
	s_waitcnt vmcnt(0)
	v_cmp_ne_u64_e32 vcc, s[8:9], v[1:2]
	s_cbranch_vccnz .LBB0_906
; %bb.907:                              ;   in Loop: Header=BB0_1 Depth=1
	s_add_i32 s8, s4, 0x1c5
	s_mov_b32 s9, s5
	v_mov_b32_e32 v1, s8
	v_mov_b32_e32 v2, s9
	global_store_dwordx2 v0, v[1:2], s[2:3]
.LBB0_908:                              ;   Parent Loop BB0_1 Depth=1
                                        ; =>  This Inner Loop Header: Depth=2
	global_load_dwordx2 v[1:2], v0, s[0:1] glc
	s_waitcnt vmcnt(0)
	v_cmp_ne_u64_e32 vcc, s[8:9], v[1:2]
	s_cbranch_vccnz .LBB0_908
; %bb.909:                              ;   in Loop: Header=BB0_1 Depth=1
	s_add_i32 s8, s4, 0x1c6
	s_mov_b32 s9, s5
	v_mov_b32_e32 v1, s8
	v_mov_b32_e32 v2, s9
	global_store_dwordx2 v0, v[1:2], s[2:3]
.LBB0_910:                              ;   Parent Loop BB0_1 Depth=1
                                        ; =>  This Inner Loop Header: Depth=2
	global_load_dwordx2 v[1:2], v0, s[0:1] glc
	s_waitcnt vmcnt(0)
	v_cmp_ne_u64_e32 vcc, s[8:9], v[1:2]
	s_cbranch_vccnz .LBB0_910
; %bb.911:                              ;   in Loop: Header=BB0_1 Depth=1
	s_add_i32 s8, s4, 0x1c7
	s_mov_b32 s9, s5
	v_mov_b32_e32 v1, s8
	v_mov_b32_e32 v2, s9
	global_store_dwordx2 v0, v[1:2], s[2:3]
.LBB0_912:                              ;   Parent Loop BB0_1 Depth=1
                                        ; =>  This Inner Loop Header: Depth=2
	global_load_dwordx2 v[1:2], v0, s[0:1] glc
	s_waitcnt vmcnt(0)
	v_cmp_ne_u64_e32 vcc, s[8:9], v[1:2]
	s_cbranch_vccnz .LBB0_912
; %bb.913:                              ;   in Loop: Header=BB0_1 Depth=1
	s_add_i32 s8, s4, 0x1c8
	s_mov_b32 s9, s5
	v_mov_b32_e32 v1, s8
	v_mov_b32_e32 v2, s9
	global_store_dwordx2 v0, v[1:2], s[2:3]
.LBB0_914:                              ;   Parent Loop BB0_1 Depth=1
                                        ; =>  This Inner Loop Header: Depth=2
	global_load_dwordx2 v[1:2], v0, s[0:1] glc
	s_waitcnt vmcnt(0)
	v_cmp_ne_u64_e32 vcc, s[8:9], v[1:2]
	s_cbranch_vccnz .LBB0_914
; %bb.915:                              ;   in Loop: Header=BB0_1 Depth=1
	s_add_i32 s8, s4, 0x1c9
	s_mov_b32 s9, s5
	v_mov_b32_e32 v1, s8
	v_mov_b32_e32 v2, s9
	global_store_dwordx2 v0, v[1:2], s[2:3]
.LBB0_916:                              ;   Parent Loop BB0_1 Depth=1
                                        ; =>  This Inner Loop Header: Depth=2
	global_load_dwordx2 v[1:2], v0, s[0:1] glc
	s_waitcnt vmcnt(0)
	v_cmp_ne_u64_e32 vcc, s[8:9], v[1:2]
	s_cbranch_vccnz .LBB0_916
; %bb.917:                              ;   in Loop: Header=BB0_1 Depth=1
	s_add_i32 s8, s4, 0x1ca
	s_mov_b32 s9, s5
	v_mov_b32_e32 v1, s8
	v_mov_b32_e32 v2, s9
	global_store_dwordx2 v0, v[1:2], s[2:3]
.LBB0_918:                              ;   Parent Loop BB0_1 Depth=1
                                        ; =>  This Inner Loop Header: Depth=2
	global_load_dwordx2 v[1:2], v0, s[0:1] glc
	s_waitcnt vmcnt(0)
	v_cmp_ne_u64_e32 vcc, s[8:9], v[1:2]
	s_cbranch_vccnz .LBB0_918
; %bb.919:                              ;   in Loop: Header=BB0_1 Depth=1
	s_add_i32 s8, s4, 0x1cb
	s_mov_b32 s9, s5
	v_mov_b32_e32 v1, s8
	v_mov_b32_e32 v2, s9
	global_store_dwordx2 v0, v[1:2], s[2:3]
.LBB0_920:                              ;   Parent Loop BB0_1 Depth=1
                                        ; =>  This Inner Loop Header: Depth=2
	global_load_dwordx2 v[1:2], v0, s[0:1] glc
	s_waitcnt vmcnt(0)
	v_cmp_ne_u64_e32 vcc, s[8:9], v[1:2]
	s_cbranch_vccnz .LBB0_920
; %bb.921:                              ;   in Loop: Header=BB0_1 Depth=1
	s_add_i32 s8, s4, 0x1cc
	s_mov_b32 s9, s5
	v_mov_b32_e32 v1, s8
	v_mov_b32_e32 v2, s9
	global_store_dwordx2 v0, v[1:2], s[2:3]
.LBB0_922:                              ;   Parent Loop BB0_1 Depth=1
                                        ; =>  This Inner Loop Header: Depth=2
	global_load_dwordx2 v[1:2], v0, s[0:1] glc
	s_waitcnt vmcnt(0)
	v_cmp_ne_u64_e32 vcc, s[8:9], v[1:2]
	s_cbranch_vccnz .LBB0_922
; %bb.923:                              ;   in Loop: Header=BB0_1 Depth=1
	s_add_i32 s8, s4, 0x1cd
	s_mov_b32 s9, s5
	v_mov_b32_e32 v1, s8
	v_mov_b32_e32 v2, s9
	global_store_dwordx2 v0, v[1:2], s[2:3]
.LBB0_924:                              ;   Parent Loop BB0_1 Depth=1
                                        ; =>  This Inner Loop Header: Depth=2
	global_load_dwordx2 v[1:2], v0, s[0:1] glc
	s_waitcnt vmcnt(0)
	v_cmp_ne_u64_e32 vcc, s[8:9], v[1:2]
	s_cbranch_vccnz .LBB0_924
; %bb.925:                              ;   in Loop: Header=BB0_1 Depth=1
	s_add_i32 s8, s4, 0x1ce
	s_mov_b32 s9, s5
	v_mov_b32_e32 v1, s8
	v_mov_b32_e32 v2, s9
	global_store_dwordx2 v0, v[1:2], s[2:3]
.LBB0_926:                              ;   Parent Loop BB0_1 Depth=1
                                        ; =>  This Inner Loop Header: Depth=2
	global_load_dwordx2 v[1:2], v0, s[0:1] glc
	s_waitcnt vmcnt(0)
	v_cmp_ne_u64_e32 vcc, s[8:9], v[1:2]
	s_cbranch_vccnz .LBB0_926
; %bb.927:                              ;   in Loop: Header=BB0_1 Depth=1
	s_add_i32 s8, s4, 0x1cf
	s_mov_b32 s9, s5
	v_mov_b32_e32 v1, s8
	v_mov_b32_e32 v2, s9
	global_store_dwordx2 v0, v[1:2], s[2:3]
.LBB0_928:                              ;   Parent Loop BB0_1 Depth=1
                                        ; =>  This Inner Loop Header: Depth=2
	global_load_dwordx2 v[1:2], v0, s[0:1] glc
	s_waitcnt vmcnt(0)
	v_cmp_ne_u64_e32 vcc, s[8:9], v[1:2]
	s_cbranch_vccnz .LBB0_928
; %bb.929:                              ;   in Loop: Header=BB0_1 Depth=1
	s_add_i32 s8, s4, 0x1d0
	s_mov_b32 s9, s5
	v_mov_b32_e32 v1, s8
	v_mov_b32_e32 v2, s9
	global_store_dwordx2 v0, v[1:2], s[2:3]
.LBB0_930:                              ;   Parent Loop BB0_1 Depth=1
                                        ; =>  This Inner Loop Header: Depth=2
	global_load_dwordx2 v[1:2], v0, s[0:1] glc
	s_waitcnt vmcnt(0)
	v_cmp_ne_u64_e32 vcc, s[8:9], v[1:2]
	s_cbranch_vccnz .LBB0_930
; %bb.931:                              ;   in Loop: Header=BB0_1 Depth=1
	s_add_i32 s8, s4, 0x1d1
	s_mov_b32 s9, s5
	v_mov_b32_e32 v1, s8
	v_mov_b32_e32 v2, s9
	global_store_dwordx2 v0, v[1:2], s[2:3]
.LBB0_932:                              ;   Parent Loop BB0_1 Depth=1
                                        ; =>  This Inner Loop Header: Depth=2
	global_load_dwordx2 v[1:2], v0, s[0:1] glc
	s_waitcnt vmcnt(0)
	v_cmp_ne_u64_e32 vcc, s[8:9], v[1:2]
	s_cbranch_vccnz .LBB0_932
; %bb.933:                              ;   in Loop: Header=BB0_1 Depth=1
	s_add_i32 s8, s4, 0x1d2
	s_mov_b32 s9, s5
	v_mov_b32_e32 v1, s8
	v_mov_b32_e32 v2, s9
	global_store_dwordx2 v0, v[1:2], s[2:3]
.LBB0_934:                              ;   Parent Loop BB0_1 Depth=1
                                        ; =>  This Inner Loop Header: Depth=2
	global_load_dwordx2 v[1:2], v0, s[0:1] glc
	s_waitcnt vmcnt(0)
	v_cmp_ne_u64_e32 vcc, s[8:9], v[1:2]
	s_cbranch_vccnz .LBB0_934
; %bb.935:                              ;   in Loop: Header=BB0_1 Depth=1
	s_add_i32 s8, s4, 0x1d3
	s_mov_b32 s9, s5
	v_mov_b32_e32 v1, s8
	v_mov_b32_e32 v2, s9
	global_store_dwordx2 v0, v[1:2], s[2:3]
.LBB0_936:                              ;   Parent Loop BB0_1 Depth=1
                                        ; =>  This Inner Loop Header: Depth=2
	global_load_dwordx2 v[1:2], v0, s[0:1] glc
	s_waitcnt vmcnt(0)
	v_cmp_ne_u64_e32 vcc, s[8:9], v[1:2]
	s_cbranch_vccnz .LBB0_936
; %bb.937:                              ;   in Loop: Header=BB0_1 Depth=1
	s_add_i32 s8, s4, 0x1d4
	s_mov_b32 s9, s5
	v_mov_b32_e32 v1, s8
	v_mov_b32_e32 v2, s9
	global_store_dwordx2 v0, v[1:2], s[2:3]
.LBB0_938:                              ;   Parent Loop BB0_1 Depth=1
                                        ; =>  This Inner Loop Header: Depth=2
	global_load_dwordx2 v[1:2], v0, s[0:1] glc
	s_waitcnt vmcnt(0)
	v_cmp_ne_u64_e32 vcc, s[8:9], v[1:2]
	s_cbranch_vccnz .LBB0_938
; %bb.939:                              ;   in Loop: Header=BB0_1 Depth=1
	s_add_i32 s8, s4, 0x1d5
	s_mov_b32 s9, s5
	v_mov_b32_e32 v1, s8
	v_mov_b32_e32 v2, s9
	global_store_dwordx2 v0, v[1:2], s[2:3]
.LBB0_940:                              ;   Parent Loop BB0_1 Depth=1
                                        ; =>  This Inner Loop Header: Depth=2
	global_load_dwordx2 v[1:2], v0, s[0:1] glc
	s_waitcnt vmcnt(0)
	v_cmp_ne_u64_e32 vcc, s[8:9], v[1:2]
	s_cbranch_vccnz .LBB0_940
; %bb.941:                              ;   in Loop: Header=BB0_1 Depth=1
	s_add_i32 s8, s4, 0x1d6
	s_mov_b32 s9, s5
	v_mov_b32_e32 v1, s8
	v_mov_b32_e32 v2, s9
	global_store_dwordx2 v0, v[1:2], s[2:3]
.LBB0_942:                              ;   Parent Loop BB0_1 Depth=1
                                        ; =>  This Inner Loop Header: Depth=2
	global_load_dwordx2 v[1:2], v0, s[0:1] glc
	s_waitcnt vmcnt(0)
	v_cmp_ne_u64_e32 vcc, s[8:9], v[1:2]
	s_cbranch_vccnz .LBB0_942
; %bb.943:                              ;   in Loop: Header=BB0_1 Depth=1
	s_add_i32 s8, s4, 0x1d7
	s_mov_b32 s9, s5
	v_mov_b32_e32 v1, s8
	v_mov_b32_e32 v2, s9
	global_store_dwordx2 v0, v[1:2], s[2:3]
.LBB0_944:                              ;   Parent Loop BB0_1 Depth=1
                                        ; =>  This Inner Loop Header: Depth=2
	global_load_dwordx2 v[1:2], v0, s[0:1] glc
	s_waitcnt vmcnt(0)
	v_cmp_ne_u64_e32 vcc, s[8:9], v[1:2]
	s_cbranch_vccnz .LBB0_944
; %bb.945:                              ;   in Loop: Header=BB0_1 Depth=1
	s_add_i32 s8, s4, 0x1d8
	s_mov_b32 s9, s5
	v_mov_b32_e32 v1, s8
	v_mov_b32_e32 v2, s9
	global_store_dwordx2 v0, v[1:2], s[2:3]
.LBB0_946:                              ;   Parent Loop BB0_1 Depth=1
                                        ; =>  This Inner Loop Header: Depth=2
	global_load_dwordx2 v[1:2], v0, s[0:1] glc
	s_waitcnt vmcnt(0)
	v_cmp_ne_u64_e32 vcc, s[8:9], v[1:2]
	s_cbranch_vccnz .LBB0_946
; %bb.947:                              ;   in Loop: Header=BB0_1 Depth=1
	s_add_i32 s8, s4, 0x1d9
	s_mov_b32 s9, s5
	v_mov_b32_e32 v1, s8
	v_mov_b32_e32 v2, s9
	global_store_dwordx2 v0, v[1:2], s[2:3]
.LBB0_948:                              ;   Parent Loop BB0_1 Depth=1
                                        ; =>  This Inner Loop Header: Depth=2
	global_load_dwordx2 v[1:2], v0, s[0:1] glc
	s_waitcnt vmcnt(0)
	v_cmp_ne_u64_e32 vcc, s[8:9], v[1:2]
	s_cbranch_vccnz .LBB0_948
; %bb.949:                              ;   in Loop: Header=BB0_1 Depth=1
	s_add_i32 s8, s4, 0x1da
	s_mov_b32 s9, s5
	v_mov_b32_e32 v1, s8
	v_mov_b32_e32 v2, s9
	global_store_dwordx2 v0, v[1:2], s[2:3]
.LBB0_950:                              ;   Parent Loop BB0_1 Depth=1
                                        ; =>  This Inner Loop Header: Depth=2
	global_load_dwordx2 v[1:2], v0, s[0:1] glc
	s_waitcnt vmcnt(0)
	v_cmp_ne_u64_e32 vcc, s[8:9], v[1:2]
	s_cbranch_vccnz .LBB0_950
; %bb.951:                              ;   in Loop: Header=BB0_1 Depth=1
	s_add_i32 s8, s4, 0x1db
	s_mov_b32 s9, s5
	v_mov_b32_e32 v1, s8
	v_mov_b32_e32 v2, s9
	global_store_dwordx2 v0, v[1:2], s[2:3]
.LBB0_952:                              ;   Parent Loop BB0_1 Depth=1
                                        ; =>  This Inner Loop Header: Depth=2
	global_load_dwordx2 v[1:2], v0, s[0:1] glc
	s_waitcnt vmcnt(0)
	v_cmp_ne_u64_e32 vcc, s[8:9], v[1:2]
	s_cbranch_vccnz .LBB0_952
; %bb.953:                              ;   in Loop: Header=BB0_1 Depth=1
	s_add_i32 s8, s4, 0x1dc
	s_mov_b32 s9, s5
	v_mov_b32_e32 v1, s8
	v_mov_b32_e32 v2, s9
	global_store_dwordx2 v0, v[1:2], s[2:3]
.LBB0_954:                              ;   Parent Loop BB0_1 Depth=1
                                        ; =>  This Inner Loop Header: Depth=2
	global_load_dwordx2 v[1:2], v0, s[0:1] glc
	s_waitcnt vmcnt(0)
	v_cmp_ne_u64_e32 vcc, s[8:9], v[1:2]
	s_cbranch_vccnz .LBB0_954
; %bb.955:                              ;   in Loop: Header=BB0_1 Depth=1
	s_add_i32 s8, s4, 0x1dd
	s_mov_b32 s9, s5
	v_mov_b32_e32 v1, s8
	v_mov_b32_e32 v2, s9
	global_store_dwordx2 v0, v[1:2], s[2:3]
.LBB0_956:                              ;   Parent Loop BB0_1 Depth=1
                                        ; =>  This Inner Loop Header: Depth=2
	global_load_dwordx2 v[1:2], v0, s[0:1] glc
	s_waitcnt vmcnt(0)
	v_cmp_ne_u64_e32 vcc, s[8:9], v[1:2]
	s_cbranch_vccnz .LBB0_956
; %bb.957:                              ;   in Loop: Header=BB0_1 Depth=1
	s_add_i32 s8, s4, 0x1de
	s_mov_b32 s9, s5
	v_mov_b32_e32 v1, s8
	v_mov_b32_e32 v2, s9
	global_store_dwordx2 v0, v[1:2], s[2:3]
.LBB0_958:                              ;   Parent Loop BB0_1 Depth=1
                                        ; =>  This Inner Loop Header: Depth=2
	global_load_dwordx2 v[1:2], v0, s[0:1] glc
	s_waitcnt vmcnt(0)
	v_cmp_ne_u64_e32 vcc, s[8:9], v[1:2]
	s_cbranch_vccnz .LBB0_958
; %bb.959:                              ;   in Loop: Header=BB0_1 Depth=1
	s_add_i32 s8, s4, 0x1df
	s_mov_b32 s9, s5
	v_mov_b32_e32 v1, s8
	v_mov_b32_e32 v2, s9
	global_store_dwordx2 v0, v[1:2], s[2:3]
.LBB0_960:                              ;   Parent Loop BB0_1 Depth=1
                                        ; =>  This Inner Loop Header: Depth=2
	global_load_dwordx2 v[1:2], v0, s[0:1] glc
	s_waitcnt vmcnt(0)
	v_cmp_ne_u64_e32 vcc, s[8:9], v[1:2]
	s_cbranch_vccnz .LBB0_960
; %bb.961:                              ;   in Loop: Header=BB0_1 Depth=1
	s_add_i32 s8, s4, 0x1e0
	s_mov_b32 s9, s5
	v_mov_b32_e32 v1, s8
	v_mov_b32_e32 v2, s9
	global_store_dwordx2 v0, v[1:2], s[2:3]
.LBB0_962:                              ;   Parent Loop BB0_1 Depth=1
                                        ; =>  This Inner Loop Header: Depth=2
	global_load_dwordx2 v[1:2], v0, s[0:1] glc
	s_waitcnt vmcnt(0)
	v_cmp_ne_u64_e32 vcc, s[8:9], v[1:2]
	s_cbranch_vccnz .LBB0_962
; %bb.963:                              ;   in Loop: Header=BB0_1 Depth=1
	s_add_i32 s8, s4, 0x1e1
	s_mov_b32 s9, s5
	v_mov_b32_e32 v1, s8
	v_mov_b32_e32 v2, s9
	global_store_dwordx2 v0, v[1:2], s[2:3]
.LBB0_964:                              ;   Parent Loop BB0_1 Depth=1
                                        ; =>  This Inner Loop Header: Depth=2
	global_load_dwordx2 v[1:2], v0, s[0:1] glc
	s_waitcnt vmcnt(0)
	v_cmp_ne_u64_e32 vcc, s[8:9], v[1:2]
	s_cbranch_vccnz .LBB0_964
; %bb.965:                              ;   in Loop: Header=BB0_1 Depth=1
	s_add_i32 s8, s4, 0x1e2
	s_mov_b32 s9, s5
	v_mov_b32_e32 v1, s8
	v_mov_b32_e32 v2, s9
	global_store_dwordx2 v0, v[1:2], s[2:3]
.LBB0_966:                              ;   Parent Loop BB0_1 Depth=1
                                        ; =>  This Inner Loop Header: Depth=2
	global_load_dwordx2 v[1:2], v0, s[0:1] glc
	s_waitcnt vmcnt(0)
	v_cmp_ne_u64_e32 vcc, s[8:9], v[1:2]
	s_cbranch_vccnz .LBB0_966
; %bb.967:                              ;   in Loop: Header=BB0_1 Depth=1
	s_add_i32 s8, s4, 0x1e3
	s_mov_b32 s9, s5
	v_mov_b32_e32 v1, s8
	v_mov_b32_e32 v2, s9
	global_store_dwordx2 v0, v[1:2], s[2:3]
.LBB0_968:                              ;   Parent Loop BB0_1 Depth=1
                                        ; =>  This Inner Loop Header: Depth=2
	global_load_dwordx2 v[1:2], v0, s[0:1] glc
	s_waitcnt vmcnt(0)
	v_cmp_ne_u64_e32 vcc, s[8:9], v[1:2]
	s_cbranch_vccnz .LBB0_968
; %bb.969:                              ;   in Loop: Header=BB0_1 Depth=1
	s_add_i32 s8, s4, 0x1e4
	s_mov_b32 s9, s5
	v_mov_b32_e32 v1, s8
	v_mov_b32_e32 v2, s9
	global_store_dwordx2 v0, v[1:2], s[2:3]
.LBB0_970:                              ;   Parent Loop BB0_1 Depth=1
                                        ; =>  This Inner Loop Header: Depth=2
	global_load_dwordx2 v[1:2], v0, s[0:1] glc
	s_waitcnt vmcnt(0)
	v_cmp_ne_u64_e32 vcc, s[8:9], v[1:2]
	s_cbranch_vccnz .LBB0_970
; %bb.971:                              ;   in Loop: Header=BB0_1 Depth=1
	s_add_i32 s8, s4, 0x1e5
	s_mov_b32 s9, s5
	v_mov_b32_e32 v1, s8
	v_mov_b32_e32 v2, s9
	global_store_dwordx2 v0, v[1:2], s[2:3]
.LBB0_972:                              ;   Parent Loop BB0_1 Depth=1
                                        ; =>  This Inner Loop Header: Depth=2
	global_load_dwordx2 v[1:2], v0, s[0:1] glc
	s_waitcnt vmcnt(0)
	v_cmp_ne_u64_e32 vcc, s[8:9], v[1:2]
	s_cbranch_vccnz .LBB0_972
; %bb.973:                              ;   in Loop: Header=BB0_1 Depth=1
	s_add_i32 s8, s4, 0x1e6
	s_mov_b32 s9, s5
	v_mov_b32_e32 v1, s8
	v_mov_b32_e32 v2, s9
	global_store_dwordx2 v0, v[1:2], s[2:3]
.LBB0_974:                              ;   Parent Loop BB0_1 Depth=1
                                        ; =>  This Inner Loop Header: Depth=2
	global_load_dwordx2 v[1:2], v0, s[0:1] glc
	s_waitcnt vmcnt(0)
	v_cmp_ne_u64_e32 vcc, s[8:9], v[1:2]
	s_cbranch_vccnz .LBB0_974
; %bb.975:                              ;   in Loop: Header=BB0_1 Depth=1
	s_add_i32 s8, s4, 0x1e7
	s_mov_b32 s9, s5
	v_mov_b32_e32 v1, s8
	v_mov_b32_e32 v2, s9
	global_store_dwordx2 v0, v[1:2], s[2:3]
.LBB0_976:                              ;   Parent Loop BB0_1 Depth=1
                                        ; =>  This Inner Loop Header: Depth=2
	global_load_dwordx2 v[1:2], v0, s[0:1] glc
	s_waitcnt vmcnt(0)
	v_cmp_ne_u64_e32 vcc, s[8:9], v[1:2]
	s_cbranch_vccnz .LBB0_976
; %bb.977:                              ;   in Loop: Header=BB0_1 Depth=1
	s_add_i32 s8, s4, 0x1e8
	s_mov_b32 s9, s5
	v_mov_b32_e32 v1, s8
	v_mov_b32_e32 v2, s9
	global_store_dwordx2 v0, v[1:2], s[2:3]
.LBB0_978:                              ;   Parent Loop BB0_1 Depth=1
                                        ; =>  This Inner Loop Header: Depth=2
	global_load_dwordx2 v[1:2], v0, s[0:1] glc
	s_waitcnt vmcnt(0)
	v_cmp_ne_u64_e32 vcc, s[8:9], v[1:2]
	s_cbranch_vccnz .LBB0_978
; %bb.979:                              ;   in Loop: Header=BB0_1 Depth=1
	s_add_i32 s8, s4, 0x1e9
	s_mov_b32 s9, s5
	v_mov_b32_e32 v1, s8
	v_mov_b32_e32 v2, s9
	global_store_dwordx2 v0, v[1:2], s[2:3]
.LBB0_980:                              ;   Parent Loop BB0_1 Depth=1
                                        ; =>  This Inner Loop Header: Depth=2
	global_load_dwordx2 v[1:2], v0, s[0:1] glc
	s_waitcnt vmcnt(0)
	v_cmp_ne_u64_e32 vcc, s[8:9], v[1:2]
	s_cbranch_vccnz .LBB0_980
; %bb.981:                              ;   in Loop: Header=BB0_1 Depth=1
	s_add_i32 s8, s4, 0x1ea
	s_mov_b32 s9, s5
	v_mov_b32_e32 v1, s8
	v_mov_b32_e32 v2, s9
	global_store_dwordx2 v0, v[1:2], s[2:3]
.LBB0_982:                              ;   Parent Loop BB0_1 Depth=1
                                        ; =>  This Inner Loop Header: Depth=2
	global_load_dwordx2 v[1:2], v0, s[0:1] glc
	s_waitcnt vmcnt(0)
	v_cmp_ne_u64_e32 vcc, s[8:9], v[1:2]
	s_cbranch_vccnz .LBB0_982
; %bb.983:                              ;   in Loop: Header=BB0_1 Depth=1
	s_add_i32 s8, s4, 0x1eb
	s_mov_b32 s9, s5
	v_mov_b32_e32 v1, s8
	v_mov_b32_e32 v2, s9
	global_store_dwordx2 v0, v[1:2], s[2:3]
.LBB0_984:                              ;   Parent Loop BB0_1 Depth=1
                                        ; =>  This Inner Loop Header: Depth=2
	global_load_dwordx2 v[1:2], v0, s[0:1] glc
	s_waitcnt vmcnt(0)
	v_cmp_ne_u64_e32 vcc, s[8:9], v[1:2]
	s_cbranch_vccnz .LBB0_984
; %bb.985:                              ;   in Loop: Header=BB0_1 Depth=1
	s_add_i32 s8, s4, 0x1ec
	s_mov_b32 s9, s5
	v_mov_b32_e32 v1, s8
	v_mov_b32_e32 v2, s9
	global_store_dwordx2 v0, v[1:2], s[2:3]
.LBB0_986:                              ;   Parent Loop BB0_1 Depth=1
                                        ; =>  This Inner Loop Header: Depth=2
	global_load_dwordx2 v[1:2], v0, s[0:1] glc
	s_waitcnt vmcnt(0)
	v_cmp_ne_u64_e32 vcc, s[8:9], v[1:2]
	s_cbranch_vccnz .LBB0_986
; %bb.987:                              ;   in Loop: Header=BB0_1 Depth=1
	s_add_i32 s8, s4, 0x1ed
	s_mov_b32 s9, s5
	v_mov_b32_e32 v1, s8
	v_mov_b32_e32 v2, s9
	global_store_dwordx2 v0, v[1:2], s[2:3]
.LBB0_988:                              ;   Parent Loop BB0_1 Depth=1
                                        ; =>  This Inner Loop Header: Depth=2
	global_load_dwordx2 v[1:2], v0, s[0:1] glc
	s_waitcnt vmcnt(0)
	v_cmp_ne_u64_e32 vcc, s[8:9], v[1:2]
	s_cbranch_vccnz .LBB0_988
; %bb.989:                              ;   in Loop: Header=BB0_1 Depth=1
	s_add_i32 s8, s4, 0x1ee
	s_mov_b32 s9, s5
	v_mov_b32_e32 v1, s8
	v_mov_b32_e32 v2, s9
	global_store_dwordx2 v0, v[1:2], s[2:3]
.LBB0_990:                              ;   Parent Loop BB0_1 Depth=1
                                        ; =>  This Inner Loop Header: Depth=2
	global_load_dwordx2 v[1:2], v0, s[0:1] glc
	s_waitcnt vmcnt(0)
	v_cmp_ne_u64_e32 vcc, s[8:9], v[1:2]
	s_cbranch_vccnz .LBB0_990
; %bb.991:                              ;   in Loop: Header=BB0_1 Depth=1
	s_add_i32 s8, s4, 0x1ef
	s_mov_b32 s9, s5
	v_mov_b32_e32 v1, s8
	v_mov_b32_e32 v2, s9
	global_store_dwordx2 v0, v[1:2], s[2:3]
.LBB0_992:                              ;   Parent Loop BB0_1 Depth=1
                                        ; =>  This Inner Loop Header: Depth=2
	global_load_dwordx2 v[1:2], v0, s[0:1] glc
	s_waitcnt vmcnt(0)
	v_cmp_ne_u64_e32 vcc, s[8:9], v[1:2]
	s_cbranch_vccnz .LBB0_992
; %bb.993:                              ;   in Loop: Header=BB0_1 Depth=1
	s_add_i32 s8, s4, 0x1f0
	s_mov_b32 s9, s5
	v_mov_b32_e32 v1, s8
	v_mov_b32_e32 v2, s9
	global_store_dwordx2 v0, v[1:2], s[2:3]
.LBB0_994:                              ;   Parent Loop BB0_1 Depth=1
                                        ; =>  This Inner Loop Header: Depth=2
	global_load_dwordx2 v[1:2], v0, s[0:1] glc
	s_waitcnt vmcnt(0)
	v_cmp_ne_u64_e32 vcc, s[8:9], v[1:2]
	s_cbranch_vccnz .LBB0_994
; %bb.995:                              ;   in Loop: Header=BB0_1 Depth=1
	s_add_i32 s8, s4, 0x1f1
	s_mov_b32 s9, s5
	v_mov_b32_e32 v1, s8
	v_mov_b32_e32 v2, s9
	global_store_dwordx2 v0, v[1:2], s[2:3]
.LBB0_996:                              ;   Parent Loop BB0_1 Depth=1
                                        ; =>  This Inner Loop Header: Depth=2
	global_load_dwordx2 v[1:2], v0, s[0:1] glc
	s_waitcnt vmcnt(0)
	v_cmp_ne_u64_e32 vcc, s[8:9], v[1:2]
	s_cbranch_vccnz .LBB0_996
; %bb.997:                              ;   in Loop: Header=BB0_1 Depth=1
	s_add_i32 s8, s4, 0x1f2
	s_mov_b32 s9, s5
	v_mov_b32_e32 v1, s8
	v_mov_b32_e32 v2, s9
	global_store_dwordx2 v0, v[1:2], s[2:3]
.LBB0_998:                              ;   Parent Loop BB0_1 Depth=1
                                        ; =>  This Inner Loop Header: Depth=2
	global_load_dwordx2 v[1:2], v0, s[0:1] glc
	s_waitcnt vmcnt(0)
	v_cmp_ne_u64_e32 vcc, s[8:9], v[1:2]
	s_cbranch_vccnz .LBB0_998
; %bb.999:                              ;   in Loop: Header=BB0_1 Depth=1
	s_add_i32 s8, s4, 0x1f3
	s_mov_b32 s9, s5
	v_mov_b32_e32 v1, s8
	v_mov_b32_e32 v2, s9
	global_store_dwordx2 v0, v[1:2], s[2:3]
.LBB0_1000:                             ;   Parent Loop BB0_1 Depth=1
                                        ; =>  This Inner Loop Header: Depth=2
	global_load_dwordx2 v[1:2], v0, s[0:1] glc
	s_waitcnt vmcnt(0)
	v_cmp_ne_u64_e32 vcc, s[8:9], v[1:2]
	s_cbranch_vccnz .LBB0_1000
; %bb.1001:                             ;   in Loop: Header=BB0_1 Depth=1
	s_add_i32 s8, s4, 0x1f4
	s_mov_b32 s9, s5
	v_mov_b32_e32 v1, s8
	v_mov_b32_e32 v2, s9
	global_store_dwordx2 v0, v[1:2], s[2:3]
.LBB0_1002:                             ;   Parent Loop BB0_1 Depth=1
                                        ; =>  This Inner Loop Header: Depth=2
	global_load_dwordx2 v[1:2], v0, s[0:1] glc
	s_waitcnt vmcnt(0)
	v_cmp_ne_u64_e32 vcc, s[8:9], v[1:2]
	s_cbranch_vccnz .LBB0_1002
; %bb.1003:                             ;   in Loop: Header=BB0_1 Depth=1
	s_add_i32 s8, s4, 0x1f5
	s_mov_b32 s9, s5
	v_mov_b32_e32 v1, s8
	v_mov_b32_e32 v2, s9
	;; [unrolled: 12-line block ×500, first 2 shown]
	global_store_dwordx2 v0, v[1:2], s[2:3]
.LBB0_2000:                             ;   Parent Loop BB0_1 Depth=1
                                        ; =>  This Inner Loop Header: Depth=2
	global_load_dwordx2 v[1:2], v0, s[0:1] glc
	s_waitcnt vmcnt(0)
	v_cmp_ne_u64_e32 vcc, s[8:9], v[1:2]
	s_cbranch_vccnz .LBB0_2000
; %bb.2001:                             ;   in Loop: Header=BB0_1 Depth=1
	s_addk_i32 s4, 0x3e8
	s_cmpk_eq_i32 s4, 0x7d1
	s_cbranch_scc0 .LBB0_1
; %bb.2002:
	s_memrealtime s[4:5]
	s_movk_i32 s8, 0x7d1
	s_mov_b32 s9, 0
	v_mov_b32_e32 v0, 0
.LBB0_2003:                             ; =>This Loop Header: Depth=1
                                        ;     Child Loop BB0_2004 Depth 2
                                        ;     Child Loop BB0_2006 Depth 2
	;; [unrolled: 1-line block ×1250, first 2 shown]
	v_mov_b32_e32 v1, s8
	v_mov_b32_e32 v2, s9
	global_store_dwordx2 v0, v[1:2], s[2:3]
.LBB0_2004:                             ;   Parent Loop BB0_2003 Depth=1
                                        ; =>  This Inner Loop Header: Depth=2
	global_load_dwordx2 v[1:2], v0, s[0:1] glc
	s_waitcnt vmcnt(0)
	v_cmp_ne_u64_e32 vcc, s[8:9], v[1:2]
	s_cbranch_vccnz .LBB0_2004
; %bb.2005:                             ;   in Loop: Header=BB0_2003 Depth=1
	s_add_i32 s10, s8, 1
	s_mov_b32 s11, s9
	v_mov_b32_e32 v1, s10
	v_mov_b32_e32 v2, s11
	global_store_dwordx2 v0, v[1:2], s[2:3]
.LBB0_2006:                             ;   Parent Loop BB0_2003 Depth=1
                                        ; =>  This Inner Loop Header: Depth=2
	global_load_dwordx2 v[1:2], v0, s[0:1] glc
	s_waitcnt vmcnt(0)
	v_cmp_ne_u64_e32 vcc, s[10:11], v[1:2]
	s_cbranch_vccnz .LBB0_2006
; %bb.2007:                             ;   in Loop: Header=BB0_2003 Depth=1
	s_add_i32 s10, s8, 2
	s_mov_b32 s11, s9
	;; [unrolled: 12-line block ×1249, first 2 shown]
	v_mov_b32_e32 v1, s10
	v_mov_b32_e32 v2, s11
	global_store_dwordx2 v0, v[1:2], s[2:3]
.LBB0_4502:                             ;   Parent Loop BB0_2003 Depth=1
                                        ; =>  This Inner Loop Header: Depth=2
	global_load_dwordx2 v[1:2], v0, s[0:1] glc
	s_waitcnt vmcnt(0)
	v_cmp_ne_u64_e32 vcc, s[10:11], v[1:2]
	s_cbranch_vccnz .LBB0_4502
; %bb.4503:                             ;   in Loop: Header=BB0_2003 Depth=1
	s_addk_i32 s8, 0x4e2
	s_cmpk_eq_i32 s8, 0x2ee1
	s_cbranch_scc0 .LBB0_2003
; %bb.4504:
	s_memrealtime s[0:1]
	v_mov_b32_e32 v2, 0
	s_waitcnt lgkmcnt(0)
	s_sub_u32 s0, s0, s4
	s_subb_u32 s1, s1, s5
	v_mov_b32_e32 v0, s0
	v_mov_b32_e32 v1, s1
	global_store_dwordx2 v2, v[0:1], s[6:7]
	s_endpgm
	.section	.rodata,"a",@progbits
	.p2align	6, 0x0
	.amdhsa_kernel _Z10PingKernelPmS_S_
		.amdhsa_group_segment_fixed_size 0
		.amdhsa_private_segment_fixed_size 0
		.amdhsa_kernarg_size 24
		.amdhsa_user_sgpr_count 6
		.amdhsa_user_sgpr_private_segment_buffer 1
		.amdhsa_user_sgpr_dispatch_ptr 0
		.amdhsa_user_sgpr_queue_ptr 0
		.amdhsa_user_sgpr_kernarg_segment_ptr 1
		.amdhsa_user_sgpr_dispatch_id 0
		.amdhsa_user_sgpr_flat_scratch_init 0
		.amdhsa_user_sgpr_private_segment_size 0
		.amdhsa_uses_dynamic_stack 0
		.amdhsa_system_sgpr_private_segment_wavefront_offset 0
		.amdhsa_system_sgpr_workgroup_id_x 1
		.amdhsa_system_sgpr_workgroup_id_y 0
		.amdhsa_system_sgpr_workgroup_id_z 0
		.amdhsa_system_sgpr_workgroup_info 0
		.amdhsa_system_vgpr_workitem_id 0
		.amdhsa_next_free_vgpr 3
		.amdhsa_next_free_sgpr 12
		.amdhsa_reserve_vcc 1
		.amdhsa_reserve_flat_scratch 0
		.amdhsa_float_round_mode_32 0
		.amdhsa_float_round_mode_16_64 0
		.amdhsa_float_denorm_mode_32 3
		.amdhsa_float_denorm_mode_16_64 3
		.amdhsa_dx10_clamp 1
		.amdhsa_ieee_mode 1
		.amdhsa_fp16_overflow 0
		.amdhsa_exception_fp_ieee_invalid_op 0
		.amdhsa_exception_fp_denorm_src 0
		.amdhsa_exception_fp_ieee_div_zero 0
		.amdhsa_exception_fp_ieee_overflow 0
		.amdhsa_exception_fp_ieee_underflow 0
		.amdhsa_exception_fp_ieee_inexact 0
		.amdhsa_exception_int_div_zero 0
	.end_amdhsa_kernel
	.text
.Lfunc_end0:
	.size	_Z10PingKernelPmS_S_, .Lfunc_end0-_Z10PingKernelPmS_S_
                                        ; -- End function
	.set _Z10PingKernelPmS_S_.num_vgpr, 3
	.set _Z10PingKernelPmS_S_.num_agpr, 0
	.set _Z10PingKernelPmS_S_.numbered_sgpr, 12
	.set _Z10PingKernelPmS_S_.num_named_barrier, 0
	.set _Z10PingKernelPmS_S_.private_seg_size, 0
	.set _Z10PingKernelPmS_S_.uses_vcc, 1
	.set _Z10PingKernelPmS_S_.uses_flat_scratch, 0
	.set _Z10PingKernelPmS_S_.has_dyn_sized_stack, 0
	.set _Z10PingKernelPmS_S_.has_recursion, 0
	.set _Z10PingKernelPmS_S_.has_indirect_call, 0
	.section	.AMDGPU.csdata,"",@progbits
; Kernel info:
; codeLenInByte = 107584
; TotalNumSgprs: 16
; NumVgprs: 3
; ScratchSize: 0
; MemoryBound: 1
; FloatMode: 240
; IeeeMode: 1
; LDSByteSize: 0 bytes/workgroup (compile time only)
; SGPRBlocks: 1
; VGPRBlocks: 0
; NumSGPRsForWavesPerEU: 16
; NumVGPRsForWavesPerEU: 3
; Occupancy: 10
; WaveLimiterHint : 0
; COMPUTE_PGM_RSRC2:SCRATCH_EN: 0
; COMPUTE_PGM_RSRC2:USER_SGPR: 6
; COMPUTE_PGM_RSRC2:TRAP_HANDLER: 0
; COMPUTE_PGM_RSRC2:TGID_X_EN: 1
; COMPUTE_PGM_RSRC2:TGID_Y_EN: 0
; COMPUTE_PGM_RSRC2:TGID_Z_EN: 0
; COMPUTE_PGM_RSRC2:TIDIG_COMP_CNT: 0
	.text
	.protected	_Z10PongKernelPmS_S_    ; -- Begin function _Z10PongKernelPmS_S_
	.globl	_Z10PongKernelPmS_S_
	.p2align	8
	.type	_Z10PongKernelPmS_S_,@function
_Z10PongKernelPmS_S_:                   ; @_Z10PongKernelPmS_S_
; %bb.0:
	s_load_dwordx4 s[0:3], s[4:5], 0x0
	s_load_dwordx2 s[6:7], s[4:5], 0x10
	s_mov_b32 s4, 1
	s_mov_b32 s5, 0
	v_mov_b32_e32 v0, 0
.LBB1_1:                                ; =>This Loop Header: Depth=1
                                        ;     Child Loop BB1_3 Depth 2
                                        ;     Child Loop BB1_5 Depth 2
	;; [unrolled: 1-line block ×999, first 2 shown]
	s_waitcnt lgkmcnt(0)
	global_load_dwordx2 v[1:2], v0, s[0:1] glc
	s_waitcnt vmcnt(0)
	v_cmp_ne_u64_e32 vcc, s[4:5], v[1:2]
	s_cbranch_vccnz .LBB1_1
; %bb.2:                                ;   in Loop: Header=BB1_1 Depth=1
	v_mov_b32_e32 v1, s4
	v_mov_b32_e32 v2, s5
	s_add_i32 s8, s4, 1
	s_mov_b32 s9, s5
	global_store_dwordx2 v0, v[1:2], s[2:3]
.LBB1_3:                                ;   Parent Loop BB1_1 Depth=1
                                        ; =>  This Inner Loop Header: Depth=2
	global_load_dwordx2 v[1:2], v0, s[0:1] glc
	s_waitcnt vmcnt(0)
	v_cmp_ne_u64_e32 vcc, s[8:9], v[1:2]
	s_cbranch_vccnz .LBB1_3
; %bb.4:                                ;   in Loop: Header=BB1_1 Depth=1
	v_mov_b32_e32 v1, s8
	v_mov_b32_e32 v2, s9
	s_add_i32 s8, s4, 2
	s_mov_b32 s9, s5
	global_store_dwordx2 v0, v[1:2], s[2:3]
.LBB1_5:                                ;   Parent Loop BB1_1 Depth=1
                                        ; =>  This Inner Loop Header: Depth=2
	global_load_dwordx2 v[1:2], v0, s[0:1] glc
	s_waitcnt vmcnt(0)
	v_cmp_ne_u64_e32 vcc, s[8:9], v[1:2]
	s_cbranch_vccnz .LBB1_5
	;; [unrolled: 12-line block ×4, first 2 shown]
; %bb.10:                               ;   in Loop: Header=BB1_1 Depth=1
	v_mov_b32_e32 v1, s8
	v_mov_b32_e32 v2, s9
	s_add_i32 s8, s4, 5
	s_mov_b32 s9, s5
	global_store_dwordx2 v0, v[1:2], s[2:3]
.LBB1_11:                               ;   Parent Loop BB1_1 Depth=1
                                        ; =>  This Inner Loop Header: Depth=2
	global_load_dwordx2 v[1:2], v0, s[0:1] glc
	s_waitcnt vmcnt(0)
	v_cmp_ne_u64_e32 vcc, s[8:9], v[1:2]
	s_cbranch_vccnz .LBB1_11
; %bb.12:                               ;   in Loop: Header=BB1_1 Depth=1
	v_mov_b32_e32 v1, s8
	v_mov_b32_e32 v2, s9
	s_add_i32 s8, s4, 6
	s_mov_b32 s9, s5
	global_store_dwordx2 v0, v[1:2], s[2:3]
.LBB1_13:                               ;   Parent Loop BB1_1 Depth=1
                                        ; =>  This Inner Loop Header: Depth=2
	global_load_dwordx2 v[1:2], v0, s[0:1] glc
	s_waitcnt vmcnt(0)
	v_cmp_ne_u64_e32 vcc, s[8:9], v[1:2]
	s_cbranch_vccnz .LBB1_13
	;; [unrolled: 12-line block ×45, first 2 shown]
; %bb.100:                              ;   in Loop: Header=BB1_1 Depth=1
	v_mov_b32_e32 v1, s8
	v_mov_b32_e32 v2, s9
	s_add_i32 s8, s4, 50
	s_mov_b32 s9, s5
	global_store_dwordx2 v0, v[1:2], s[2:3]
.LBB1_101:                              ;   Parent Loop BB1_1 Depth=1
                                        ; =>  This Inner Loop Header: Depth=2
	global_load_dwordx2 v[1:2], v0, s[0:1] glc
	s_waitcnt vmcnt(0)
	v_cmp_ne_u64_e32 vcc, s[8:9], v[1:2]
	s_cbranch_vccnz .LBB1_101
; %bb.102:                              ;   in Loop: Header=BB1_1 Depth=1
	v_mov_b32_e32 v1, s8
	v_mov_b32_e32 v2, s9
	s_add_i32 s8, s4, 51
	s_mov_b32 s9, s5
	global_store_dwordx2 v0, v[1:2], s[2:3]
.LBB1_103:                              ;   Parent Loop BB1_1 Depth=1
                                        ; =>  This Inner Loop Header: Depth=2
	global_load_dwordx2 v[1:2], v0, s[0:1] glc
	s_waitcnt vmcnt(0)
	v_cmp_ne_u64_e32 vcc, s[8:9], v[1:2]
	s_cbranch_vccnz .LBB1_103
; %bb.104:                              ;   in Loop: Header=BB1_1 Depth=1
	v_mov_b32_e32 v1, s8
	v_mov_b32_e32 v2, s9
	s_add_i32 s8, s4, 52
	s_mov_b32 s9, s5
	global_store_dwordx2 v0, v[1:2], s[2:3]
.LBB1_105:                              ;   Parent Loop BB1_1 Depth=1
                                        ; =>  This Inner Loop Header: Depth=2
	global_load_dwordx2 v[1:2], v0, s[0:1] glc
	s_waitcnt vmcnt(0)
	v_cmp_ne_u64_e32 vcc, s[8:9], v[1:2]
	s_cbranch_vccnz .LBB1_105
; %bb.106:                              ;   in Loop: Header=BB1_1 Depth=1
	v_mov_b32_e32 v1, s8
	v_mov_b32_e32 v2, s9
	s_add_i32 s8, s4, 53
	s_mov_b32 s9, s5
	global_store_dwordx2 v0, v[1:2], s[2:3]
.LBB1_107:                              ;   Parent Loop BB1_1 Depth=1
                                        ; =>  This Inner Loop Header: Depth=2
	global_load_dwordx2 v[1:2], v0, s[0:1] glc
	s_waitcnt vmcnt(0)
	v_cmp_ne_u64_e32 vcc, s[8:9], v[1:2]
	s_cbranch_vccnz .LBB1_107
; %bb.108:                              ;   in Loop: Header=BB1_1 Depth=1
	v_mov_b32_e32 v1, s8
	v_mov_b32_e32 v2, s9
	s_add_i32 s8, s4, 54
	s_mov_b32 s9, s5
	global_store_dwordx2 v0, v[1:2], s[2:3]
.LBB1_109:                              ;   Parent Loop BB1_1 Depth=1
                                        ; =>  This Inner Loop Header: Depth=2
	global_load_dwordx2 v[1:2], v0, s[0:1] glc
	s_waitcnt vmcnt(0)
	v_cmp_ne_u64_e32 vcc, s[8:9], v[1:2]
	s_cbranch_vccnz .LBB1_109
; %bb.110:                              ;   in Loop: Header=BB1_1 Depth=1
	v_mov_b32_e32 v1, s8
	v_mov_b32_e32 v2, s9
	s_add_i32 s8, s4, 55
	s_mov_b32 s9, s5
	global_store_dwordx2 v0, v[1:2], s[2:3]
.LBB1_111:                              ;   Parent Loop BB1_1 Depth=1
                                        ; =>  This Inner Loop Header: Depth=2
	global_load_dwordx2 v[1:2], v0, s[0:1] glc
	s_waitcnt vmcnt(0)
	v_cmp_ne_u64_e32 vcc, s[8:9], v[1:2]
	s_cbranch_vccnz .LBB1_111
; %bb.112:                              ;   in Loop: Header=BB1_1 Depth=1
	v_mov_b32_e32 v1, s8
	v_mov_b32_e32 v2, s9
	s_add_i32 s8, s4, 56
	s_mov_b32 s9, s5
	global_store_dwordx2 v0, v[1:2], s[2:3]
.LBB1_113:                              ;   Parent Loop BB1_1 Depth=1
                                        ; =>  This Inner Loop Header: Depth=2
	global_load_dwordx2 v[1:2], v0, s[0:1] glc
	s_waitcnt vmcnt(0)
	v_cmp_ne_u64_e32 vcc, s[8:9], v[1:2]
	s_cbranch_vccnz .LBB1_113
; %bb.114:                              ;   in Loop: Header=BB1_1 Depth=1
	v_mov_b32_e32 v1, s8
	v_mov_b32_e32 v2, s9
	s_add_i32 s8, s4, 57
	s_mov_b32 s9, s5
	global_store_dwordx2 v0, v[1:2], s[2:3]
.LBB1_115:                              ;   Parent Loop BB1_1 Depth=1
                                        ; =>  This Inner Loop Header: Depth=2
	global_load_dwordx2 v[1:2], v0, s[0:1] glc
	s_waitcnt vmcnt(0)
	v_cmp_ne_u64_e32 vcc, s[8:9], v[1:2]
	s_cbranch_vccnz .LBB1_115
; %bb.116:                              ;   in Loop: Header=BB1_1 Depth=1
	v_mov_b32_e32 v1, s8
	v_mov_b32_e32 v2, s9
	s_add_i32 s8, s4, 58
	s_mov_b32 s9, s5
	global_store_dwordx2 v0, v[1:2], s[2:3]
.LBB1_117:                              ;   Parent Loop BB1_1 Depth=1
                                        ; =>  This Inner Loop Header: Depth=2
	global_load_dwordx2 v[1:2], v0, s[0:1] glc
	s_waitcnt vmcnt(0)
	v_cmp_ne_u64_e32 vcc, s[8:9], v[1:2]
	s_cbranch_vccnz .LBB1_117
; %bb.118:                              ;   in Loop: Header=BB1_1 Depth=1
	v_mov_b32_e32 v1, s8
	v_mov_b32_e32 v2, s9
	s_add_i32 s8, s4, 59
	s_mov_b32 s9, s5
	global_store_dwordx2 v0, v[1:2], s[2:3]
.LBB1_119:                              ;   Parent Loop BB1_1 Depth=1
                                        ; =>  This Inner Loop Header: Depth=2
	global_load_dwordx2 v[1:2], v0, s[0:1] glc
	s_waitcnt vmcnt(0)
	v_cmp_ne_u64_e32 vcc, s[8:9], v[1:2]
	s_cbranch_vccnz .LBB1_119
; %bb.120:                              ;   in Loop: Header=BB1_1 Depth=1
	v_mov_b32_e32 v1, s8
	v_mov_b32_e32 v2, s9
	s_add_i32 s8, s4, 60
	s_mov_b32 s9, s5
	global_store_dwordx2 v0, v[1:2], s[2:3]
.LBB1_121:                              ;   Parent Loop BB1_1 Depth=1
                                        ; =>  This Inner Loop Header: Depth=2
	global_load_dwordx2 v[1:2], v0, s[0:1] glc
	s_waitcnt vmcnt(0)
	v_cmp_ne_u64_e32 vcc, s[8:9], v[1:2]
	s_cbranch_vccnz .LBB1_121
; %bb.122:                              ;   in Loop: Header=BB1_1 Depth=1
	v_mov_b32_e32 v1, s8
	v_mov_b32_e32 v2, s9
	s_add_i32 s8, s4, 61
	s_mov_b32 s9, s5
	global_store_dwordx2 v0, v[1:2], s[2:3]
.LBB1_123:                              ;   Parent Loop BB1_1 Depth=1
                                        ; =>  This Inner Loop Header: Depth=2
	global_load_dwordx2 v[1:2], v0, s[0:1] glc
	s_waitcnt vmcnt(0)
	v_cmp_ne_u64_e32 vcc, s[8:9], v[1:2]
	s_cbranch_vccnz .LBB1_123
; %bb.124:                              ;   in Loop: Header=BB1_1 Depth=1
	v_mov_b32_e32 v1, s8
	v_mov_b32_e32 v2, s9
	s_add_i32 s8, s4, 62
	s_mov_b32 s9, s5
	global_store_dwordx2 v0, v[1:2], s[2:3]
.LBB1_125:                              ;   Parent Loop BB1_1 Depth=1
                                        ; =>  This Inner Loop Header: Depth=2
	global_load_dwordx2 v[1:2], v0, s[0:1] glc
	s_waitcnt vmcnt(0)
	v_cmp_ne_u64_e32 vcc, s[8:9], v[1:2]
	s_cbranch_vccnz .LBB1_125
; %bb.126:                              ;   in Loop: Header=BB1_1 Depth=1
	v_mov_b32_e32 v1, s8
	v_mov_b32_e32 v2, s9
	s_add_i32 s8, s4, 63
	s_mov_b32 s9, s5
	global_store_dwordx2 v0, v[1:2], s[2:3]
.LBB1_127:                              ;   Parent Loop BB1_1 Depth=1
                                        ; =>  This Inner Loop Header: Depth=2
	global_load_dwordx2 v[1:2], v0, s[0:1] glc
	s_waitcnt vmcnt(0)
	v_cmp_ne_u64_e32 vcc, s[8:9], v[1:2]
	s_cbranch_vccnz .LBB1_127
; %bb.128:                              ;   in Loop: Header=BB1_1 Depth=1
	v_mov_b32_e32 v1, s8
	v_mov_b32_e32 v2, s9
	s_add_i32 s8, s4, 64
	s_mov_b32 s9, s5
	global_store_dwordx2 v0, v[1:2], s[2:3]
.LBB1_129:                              ;   Parent Loop BB1_1 Depth=1
                                        ; =>  This Inner Loop Header: Depth=2
	global_load_dwordx2 v[1:2], v0, s[0:1] glc
	s_waitcnt vmcnt(0)
	v_cmp_ne_u64_e32 vcc, s[8:9], v[1:2]
	s_cbranch_vccnz .LBB1_129
; %bb.130:                              ;   in Loop: Header=BB1_1 Depth=1
	v_mov_b32_e32 v1, s8
	v_mov_b32_e32 v2, s9
	s_add_i32 s8, s4, 0x41
	s_mov_b32 s9, s5
	global_store_dwordx2 v0, v[1:2], s[2:3]
.LBB1_131:                              ;   Parent Loop BB1_1 Depth=1
                                        ; =>  This Inner Loop Header: Depth=2
	global_load_dwordx2 v[1:2], v0, s[0:1] glc
	s_waitcnt vmcnt(0)
	v_cmp_ne_u64_e32 vcc, s[8:9], v[1:2]
	s_cbranch_vccnz .LBB1_131
; %bb.132:                              ;   in Loop: Header=BB1_1 Depth=1
	v_mov_b32_e32 v1, s8
	v_mov_b32_e32 v2, s9
	s_add_i32 s8, s4, 0x42
	s_mov_b32 s9, s5
	global_store_dwordx2 v0, v[1:2], s[2:3]
.LBB1_133:                              ;   Parent Loop BB1_1 Depth=1
                                        ; =>  This Inner Loop Header: Depth=2
	global_load_dwordx2 v[1:2], v0, s[0:1] glc
	s_waitcnt vmcnt(0)
	v_cmp_ne_u64_e32 vcc, s[8:9], v[1:2]
	s_cbranch_vccnz .LBB1_133
; %bb.134:                              ;   in Loop: Header=BB1_1 Depth=1
	v_mov_b32_e32 v1, s8
	v_mov_b32_e32 v2, s9
	s_add_i32 s8, s4, 0x43
	s_mov_b32 s9, s5
	global_store_dwordx2 v0, v[1:2], s[2:3]
.LBB1_135:                              ;   Parent Loop BB1_1 Depth=1
                                        ; =>  This Inner Loop Header: Depth=2
	global_load_dwordx2 v[1:2], v0, s[0:1] glc
	s_waitcnt vmcnt(0)
	v_cmp_ne_u64_e32 vcc, s[8:9], v[1:2]
	s_cbranch_vccnz .LBB1_135
; %bb.136:                              ;   in Loop: Header=BB1_1 Depth=1
	v_mov_b32_e32 v1, s8
	v_mov_b32_e32 v2, s9
	s_add_i32 s8, s4, 0x44
	s_mov_b32 s9, s5
	global_store_dwordx2 v0, v[1:2], s[2:3]
.LBB1_137:                              ;   Parent Loop BB1_1 Depth=1
                                        ; =>  This Inner Loop Header: Depth=2
	global_load_dwordx2 v[1:2], v0, s[0:1] glc
	s_waitcnt vmcnt(0)
	v_cmp_ne_u64_e32 vcc, s[8:9], v[1:2]
	s_cbranch_vccnz .LBB1_137
; %bb.138:                              ;   in Loop: Header=BB1_1 Depth=1
	v_mov_b32_e32 v1, s8
	v_mov_b32_e32 v2, s9
	s_add_i32 s8, s4, 0x45
	s_mov_b32 s9, s5
	global_store_dwordx2 v0, v[1:2], s[2:3]
.LBB1_139:                              ;   Parent Loop BB1_1 Depth=1
                                        ; =>  This Inner Loop Header: Depth=2
	global_load_dwordx2 v[1:2], v0, s[0:1] glc
	s_waitcnt vmcnt(0)
	v_cmp_ne_u64_e32 vcc, s[8:9], v[1:2]
	s_cbranch_vccnz .LBB1_139
; %bb.140:                              ;   in Loop: Header=BB1_1 Depth=1
	v_mov_b32_e32 v1, s8
	v_mov_b32_e32 v2, s9
	s_add_i32 s8, s4, 0x46
	s_mov_b32 s9, s5
	global_store_dwordx2 v0, v[1:2], s[2:3]
.LBB1_141:                              ;   Parent Loop BB1_1 Depth=1
                                        ; =>  This Inner Loop Header: Depth=2
	global_load_dwordx2 v[1:2], v0, s[0:1] glc
	s_waitcnt vmcnt(0)
	v_cmp_ne_u64_e32 vcc, s[8:9], v[1:2]
	s_cbranch_vccnz .LBB1_141
; %bb.142:                              ;   in Loop: Header=BB1_1 Depth=1
	v_mov_b32_e32 v1, s8
	v_mov_b32_e32 v2, s9
	s_add_i32 s8, s4, 0x47
	s_mov_b32 s9, s5
	global_store_dwordx2 v0, v[1:2], s[2:3]
.LBB1_143:                              ;   Parent Loop BB1_1 Depth=1
                                        ; =>  This Inner Loop Header: Depth=2
	global_load_dwordx2 v[1:2], v0, s[0:1] glc
	s_waitcnt vmcnt(0)
	v_cmp_ne_u64_e32 vcc, s[8:9], v[1:2]
	s_cbranch_vccnz .LBB1_143
; %bb.144:                              ;   in Loop: Header=BB1_1 Depth=1
	v_mov_b32_e32 v1, s8
	v_mov_b32_e32 v2, s9
	s_add_i32 s8, s4, 0x48
	s_mov_b32 s9, s5
	global_store_dwordx2 v0, v[1:2], s[2:3]
.LBB1_145:                              ;   Parent Loop BB1_1 Depth=1
                                        ; =>  This Inner Loop Header: Depth=2
	global_load_dwordx2 v[1:2], v0, s[0:1] glc
	s_waitcnt vmcnt(0)
	v_cmp_ne_u64_e32 vcc, s[8:9], v[1:2]
	s_cbranch_vccnz .LBB1_145
; %bb.146:                              ;   in Loop: Header=BB1_1 Depth=1
	v_mov_b32_e32 v1, s8
	v_mov_b32_e32 v2, s9
	s_add_i32 s8, s4, 0x49
	s_mov_b32 s9, s5
	global_store_dwordx2 v0, v[1:2], s[2:3]
.LBB1_147:                              ;   Parent Loop BB1_1 Depth=1
                                        ; =>  This Inner Loop Header: Depth=2
	global_load_dwordx2 v[1:2], v0, s[0:1] glc
	s_waitcnt vmcnt(0)
	v_cmp_ne_u64_e32 vcc, s[8:9], v[1:2]
	s_cbranch_vccnz .LBB1_147
; %bb.148:                              ;   in Loop: Header=BB1_1 Depth=1
	v_mov_b32_e32 v1, s8
	v_mov_b32_e32 v2, s9
	s_add_i32 s8, s4, 0x4a
	s_mov_b32 s9, s5
	global_store_dwordx2 v0, v[1:2], s[2:3]
.LBB1_149:                              ;   Parent Loop BB1_1 Depth=1
                                        ; =>  This Inner Loop Header: Depth=2
	global_load_dwordx2 v[1:2], v0, s[0:1] glc
	s_waitcnt vmcnt(0)
	v_cmp_ne_u64_e32 vcc, s[8:9], v[1:2]
	s_cbranch_vccnz .LBB1_149
; %bb.150:                              ;   in Loop: Header=BB1_1 Depth=1
	v_mov_b32_e32 v1, s8
	v_mov_b32_e32 v2, s9
	s_add_i32 s8, s4, 0x4b
	s_mov_b32 s9, s5
	global_store_dwordx2 v0, v[1:2], s[2:3]
.LBB1_151:                              ;   Parent Loop BB1_1 Depth=1
                                        ; =>  This Inner Loop Header: Depth=2
	global_load_dwordx2 v[1:2], v0, s[0:1] glc
	s_waitcnt vmcnt(0)
	v_cmp_ne_u64_e32 vcc, s[8:9], v[1:2]
	s_cbranch_vccnz .LBB1_151
; %bb.152:                              ;   in Loop: Header=BB1_1 Depth=1
	v_mov_b32_e32 v1, s8
	v_mov_b32_e32 v2, s9
	s_add_i32 s8, s4, 0x4c
	s_mov_b32 s9, s5
	global_store_dwordx2 v0, v[1:2], s[2:3]
.LBB1_153:                              ;   Parent Loop BB1_1 Depth=1
                                        ; =>  This Inner Loop Header: Depth=2
	global_load_dwordx2 v[1:2], v0, s[0:1] glc
	s_waitcnt vmcnt(0)
	v_cmp_ne_u64_e32 vcc, s[8:9], v[1:2]
	s_cbranch_vccnz .LBB1_153
; %bb.154:                              ;   in Loop: Header=BB1_1 Depth=1
	v_mov_b32_e32 v1, s8
	v_mov_b32_e32 v2, s9
	s_add_i32 s8, s4, 0x4d
	s_mov_b32 s9, s5
	global_store_dwordx2 v0, v[1:2], s[2:3]
.LBB1_155:                              ;   Parent Loop BB1_1 Depth=1
                                        ; =>  This Inner Loop Header: Depth=2
	global_load_dwordx2 v[1:2], v0, s[0:1] glc
	s_waitcnt vmcnt(0)
	v_cmp_ne_u64_e32 vcc, s[8:9], v[1:2]
	s_cbranch_vccnz .LBB1_155
; %bb.156:                              ;   in Loop: Header=BB1_1 Depth=1
	v_mov_b32_e32 v1, s8
	v_mov_b32_e32 v2, s9
	s_add_i32 s8, s4, 0x4e
	s_mov_b32 s9, s5
	global_store_dwordx2 v0, v[1:2], s[2:3]
.LBB1_157:                              ;   Parent Loop BB1_1 Depth=1
                                        ; =>  This Inner Loop Header: Depth=2
	global_load_dwordx2 v[1:2], v0, s[0:1] glc
	s_waitcnt vmcnt(0)
	v_cmp_ne_u64_e32 vcc, s[8:9], v[1:2]
	s_cbranch_vccnz .LBB1_157
; %bb.158:                              ;   in Loop: Header=BB1_1 Depth=1
	v_mov_b32_e32 v1, s8
	v_mov_b32_e32 v2, s9
	s_add_i32 s8, s4, 0x4f
	s_mov_b32 s9, s5
	global_store_dwordx2 v0, v[1:2], s[2:3]
.LBB1_159:                              ;   Parent Loop BB1_1 Depth=1
                                        ; =>  This Inner Loop Header: Depth=2
	global_load_dwordx2 v[1:2], v0, s[0:1] glc
	s_waitcnt vmcnt(0)
	v_cmp_ne_u64_e32 vcc, s[8:9], v[1:2]
	s_cbranch_vccnz .LBB1_159
; %bb.160:                              ;   in Loop: Header=BB1_1 Depth=1
	v_mov_b32_e32 v1, s8
	v_mov_b32_e32 v2, s9
	s_add_i32 s8, s4, 0x50
	s_mov_b32 s9, s5
	global_store_dwordx2 v0, v[1:2], s[2:3]
.LBB1_161:                              ;   Parent Loop BB1_1 Depth=1
                                        ; =>  This Inner Loop Header: Depth=2
	global_load_dwordx2 v[1:2], v0, s[0:1] glc
	s_waitcnt vmcnt(0)
	v_cmp_ne_u64_e32 vcc, s[8:9], v[1:2]
	s_cbranch_vccnz .LBB1_161
; %bb.162:                              ;   in Loop: Header=BB1_1 Depth=1
	v_mov_b32_e32 v1, s8
	v_mov_b32_e32 v2, s9
	s_add_i32 s8, s4, 0x51
	s_mov_b32 s9, s5
	global_store_dwordx2 v0, v[1:2], s[2:3]
.LBB1_163:                              ;   Parent Loop BB1_1 Depth=1
                                        ; =>  This Inner Loop Header: Depth=2
	global_load_dwordx2 v[1:2], v0, s[0:1] glc
	s_waitcnt vmcnt(0)
	v_cmp_ne_u64_e32 vcc, s[8:9], v[1:2]
	s_cbranch_vccnz .LBB1_163
; %bb.164:                              ;   in Loop: Header=BB1_1 Depth=1
	v_mov_b32_e32 v1, s8
	v_mov_b32_e32 v2, s9
	s_add_i32 s8, s4, 0x52
	s_mov_b32 s9, s5
	global_store_dwordx2 v0, v[1:2], s[2:3]
.LBB1_165:                              ;   Parent Loop BB1_1 Depth=1
                                        ; =>  This Inner Loop Header: Depth=2
	global_load_dwordx2 v[1:2], v0, s[0:1] glc
	s_waitcnt vmcnt(0)
	v_cmp_ne_u64_e32 vcc, s[8:9], v[1:2]
	s_cbranch_vccnz .LBB1_165
; %bb.166:                              ;   in Loop: Header=BB1_1 Depth=1
	v_mov_b32_e32 v1, s8
	v_mov_b32_e32 v2, s9
	s_add_i32 s8, s4, 0x53
	s_mov_b32 s9, s5
	global_store_dwordx2 v0, v[1:2], s[2:3]
.LBB1_167:                              ;   Parent Loop BB1_1 Depth=1
                                        ; =>  This Inner Loop Header: Depth=2
	global_load_dwordx2 v[1:2], v0, s[0:1] glc
	s_waitcnt vmcnt(0)
	v_cmp_ne_u64_e32 vcc, s[8:9], v[1:2]
	s_cbranch_vccnz .LBB1_167
; %bb.168:                              ;   in Loop: Header=BB1_1 Depth=1
	v_mov_b32_e32 v1, s8
	v_mov_b32_e32 v2, s9
	s_add_i32 s8, s4, 0x54
	s_mov_b32 s9, s5
	global_store_dwordx2 v0, v[1:2], s[2:3]
.LBB1_169:                              ;   Parent Loop BB1_1 Depth=1
                                        ; =>  This Inner Loop Header: Depth=2
	global_load_dwordx2 v[1:2], v0, s[0:1] glc
	s_waitcnt vmcnt(0)
	v_cmp_ne_u64_e32 vcc, s[8:9], v[1:2]
	s_cbranch_vccnz .LBB1_169
; %bb.170:                              ;   in Loop: Header=BB1_1 Depth=1
	v_mov_b32_e32 v1, s8
	v_mov_b32_e32 v2, s9
	s_add_i32 s8, s4, 0x55
	s_mov_b32 s9, s5
	global_store_dwordx2 v0, v[1:2], s[2:3]
.LBB1_171:                              ;   Parent Loop BB1_1 Depth=1
                                        ; =>  This Inner Loop Header: Depth=2
	global_load_dwordx2 v[1:2], v0, s[0:1] glc
	s_waitcnt vmcnt(0)
	v_cmp_ne_u64_e32 vcc, s[8:9], v[1:2]
	s_cbranch_vccnz .LBB1_171
; %bb.172:                              ;   in Loop: Header=BB1_1 Depth=1
	v_mov_b32_e32 v1, s8
	v_mov_b32_e32 v2, s9
	s_add_i32 s8, s4, 0x56
	s_mov_b32 s9, s5
	global_store_dwordx2 v0, v[1:2], s[2:3]
.LBB1_173:                              ;   Parent Loop BB1_1 Depth=1
                                        ; =>  This Inner Loop Header: Depth=2
	global_load_dwordx2 v[1:2], v0, s[0:1] glc
	s_waitcnt vmcnt(0)
	v_cmp_ne_u64_e32 vcc, s[8:9], v[1:2]
	s_cbranch_vccnz .LBB1_173
; %bb.174:                              ;   in Loop: Header=BB1_1 Depth=1
	v_mov_b32_e32 v1, s8
	v_mov_b32_e32 v2, s9
	s_add_i32 s8, s4, 0x57
	s_mov_b32 s9, s5
	global_store_dwordx2 v0, v[1:2], s[2:3]
.LBB1_175:                              ;   Parent Loop BB1_1 Depth=1
                                        ; =>  This Inner Loop Header: Depth=2
	global_load_dwordx2 v[1:2], v0, s[0:1] glc
	s_waitcnt vmcnt(0)
	v_cmp_ne_u64_e32 vcc, s[8:9], v[1:2]
	s_cbranch_vccnz .LBB1_175
; %bb.176:                              ;   in Loop: Header=BB1_1 Depth=1
	v_mov_b32_e32 v1, s8
	v_mov_b32_e32 v2, s9
	s_add_i32 s8, s4, 0x58
	s_mov_b32 s9, s5
	global_store_dwordx2 v0, v[1:2], s[2:3]
.LBB1_177:                              ;   Parent Loop BB1_1 Depth=1
                                        ; =>  This Inner Loop Header: Depth=2
	global_load_dwordx2 v[1:2], v0, s[0:1] glc
	s_waitcnt vmcnt(0)
	v_cmp_ne_u64_e32 vcc, s[8:9], v[1:2]
	s_cbranch_vccnz .LBB1_177
; %bb.178:                              ;   in Loop: Header=BB1_1 Depth=1
	v_mov_b32_e32 v1, s8
	v_mov_b32_e32 v2, s9
	s_add_i32 s8, s4, 0x59
	s_mov_b32 s9, s5
	global_store_dwordx2 v0, v[1:2], s[2:3]
.LBB1_179:                              ;   Parent Loop BB1_1 Depth=1
                                        ; =>  This Inner Loop Header: Depth=2
	global_load_dwordx2 v[1:2], v0, s[0:1] glc
	s_waitcnt vmcnt(0)
	v_cmp_ne_u64_e32 vcc, s[8:9], v[1:2]
	s_cbranch_vccnz .LBB1_179
; %bb.180:                              ;   in Loop: Header=BB1_1 Depth=1
	v_mov_b32_e32 v1, s8
	v_mov_b32_e32 v2, s9
	s_add_i32 s8, s4, 0x5a
	s_mov_b32 s9, s5
	global_store_dwordx2 v0, v[1:2], s[2:3]
.LBB1_181:                              ;   Parent Loop BB1_1 Depth=1
                                        ; =>  This Inner Loop Header: Depth=2
	global_load_dwordx2 v[1:2], v0, s[0:1] glc
	s_waitcnt vmcnt(0)
	v_cmp_ne_u64_e32 vcc, s[8:9], v[1:2]
	s_cbranch_vccnz .LBB1_181
; %bb.182:                              ;   in Loop: Header=BB1_1 Depth=1
	v_mov_b32_e32 v1, s8
	v_mov_b32_e32 v2, s9
	s_add_i32 s8, s4, 0x5b
	s_mov_b32 s9, s5
	global_store_dwordx2 v0, v[1:2], s[2:3]
.LBB1_183:                              ;   Parent Loop BB1_1 Depth=1
                                        ; =>  This Inner Loop Header: Depth=2
	global_load_dwordx2 v[1:2], v0, s[0:1] glc
	s_waitcnt vmcnt(0)
	v_cmp_ne_u64_e32 vcc, s[8:9], v[1:2]
	s_cbranch_vccnz .LBB1_183
; %bb.184:                              ;   in Loop: Header=BB1_1 Depth=1
	v_mov_b32_e32 v1, s8
	v_mov_b32_e32 v2, s9
	s_add_i32 s8, s4, 0x5c
	s_mov_b32 s9, s5
	global_store_dwordx2 v0, v[1:2], s[2:3]
.LBB1_185:                              ;   Parent Loop BB1_1 Depth=1
                                        ; =>  This Inner Loop Header: Depth=2
	global_load_dwordx2 v[1:2], v0, s[0:1] glc
	s_waitcnt vmcnt(0)
	v_cmp_ne_u64_e32 vcc, s[8:9], v[1:2]
	s_cbranch_vccnz .LBB1_185
; %bb.186:                              ;   in Loop: Header=BB1_1 Depth=1
	v_mov_b32_e32 v1, s8
	v_mov_b32_e32 v2, s9
	s_add_i32 s8, s4, 0x5d
	s_mov_b32 s9, s5
	global_store_dwordx2 v0, v[1:2], s[2:3]
.LBB1_187:                              ;   Parent Loop BB1_1 Depth=1
                                        ; =>  This Inner Loop Header: Depth=2
	global_load_dwordx2 v[1:2], v0, s[0:1] glc
	s_waitcnt vmcnt(0)
	v_cmp_ne_u64_e32 vcc, s[8:9], v[1:2]
	s_cbranch_vccnz .LBB1_187
; %bb.188:                              ;   in Loop: Header=BB1_1 Depth=1
	v_mov_b32_e32 v1, s8
	v_mov_b32_e32 v2, s9
	s_add_i32 s8, s4, 0x5e
	s_mov_b32 s9, s5
	global_store_dwordx2 v0, v[1:2], s[2:3]
.LBB1_189:                              ;   Parent Loop BB1_1 Depth=1
                                        ; =>  This Inner Loop Header: Depth=2
	global_load_dwordx2 v[1:2], v0, s[0:1] glc
	s_waitcnt vmcnt(0)
	v_cmp_ne_u64_e32 vcc, s[8:9], v[1:2]
	s_cbranch_vccnz .LBB1_189
; %bb.190:                              ;   in Loop: Header=BB1_1 Depth=1
	v_mov_b32_e32 v1, s8
	v_mov_b32_e32 v2, s9
	s_add_i32 s8, s4, 0x5f
	s_mov_b32 s9, s5
	global_store_dwordx2 v0, v[1:2], s[2:3]
.LBB1_191:                              ;   Parent Loop BB1_1 Depth=1
                                        ; =>  This Inner Loop Header: Depth=2
	global_load_dwordx2 v[1:2], v0, s[0:1] glc
	s_waitcnt vmcnt(0)
	v_cmp_ne_u64_e32 vcc, s[8:9], v[1:2]
	s_cbranch_vccnz .LBB1_191
; %bb.192:                              ;   in Loop: Header=BB1_1 Depth=1
	v_mov_b32_e32 v1, s8
	v_mov_b32_e32 v2, s9
	s_add_i32 s8, s4, 0x60
	s_mov_b32 s9, s5
	global_store_dwordx2 v0, v[1:2], s[2:3]
.LBB1_193:                              ;   Parent Loop BB1_1 Depth=1
                                        ; =>  This Inner Loop Header: Depth=2
	global_load_dwordx2 v[1:2], v0, s[0:1] glc
	s_waitcnt vmcnt(0)
	v_cmp_ne_u64_e32 vcc, s[8:9], v[1:2]
	s_cbranch_vccnz .LBB1_193
; %bb.194:                              ;   in Loop: Header=BB1_1 Depth=1
	v_mov_b32_e32 v1, s8
	v_mov_b32_e32 v2, s9
	s_add_i32 s8, s4, 0x61
	s_mov_b32 s9, s5
	global_store_dwordx2 v0, v[1:2], s[2:3]
.LBB1_195:                              ;   Parent Loop BB1_1 Depth=1
                                        ; =>  This Inner Loop Header: Depth=2
	global_load_dwordx2 v[1:2], v0, s[0:1] glc
	s_waitcnt vmcnt(0)
	v_cmp_ne_u64_e32 vcc, s[8:9], v[1:2]
	s_cbranch_vccnz .LBB1_195
; %bb.196:                              ;   in Loop: Header=BB1_1 Depth=1
	v_mov_b32_e32 v1, s8
	v_mov_b32_e32 v2, s9
	s_add_i32 s8, s4, 0x62
	s_mov_b32 s9, s5
	global_store_dwordx2 v0, v[1:2], s[2:3]
.LBB1_197:                              ;   Parent Loop BB1_1 Depth=1
                                        ; =>  This Inner Loop Header: Depth=2
	global_load_dwordx2 v[1:2], v0, s[0:1] glc
	s_waitcnt vmcnt(0)
	v_cmp_ne_u64_e32 vcc, s[8:9], v[1:2]
	s_cbranch_vccnz .LBB1_197
; %bb.198:                              ;   in Loop: Header=BB1_1 Depth=1
	v_mov_b32_e32 v1, s8
	v_mov_b32_e32 v2, s9
	s_add_i32 s8, s4, 0x63
	s_mov_b32 s9, s5
	global_store_dwordx2 v0, v[1:2], s[2:3]
.LBB1_199:                              ;   Parent Loop BB1_1 Depth=1
                                        ; =>  This Inner Loop Header: Depth=2
	global_load_dwordx2 v[1:2], v0, s[0:1] glc
	s_waitcnt vmcnt(0)
	v_cmp_ne_u64_e32 vcc, s[8:9], v[1:2]
	s_cbranch_vccnz .LBB1_199
; %bb.200:                              ;   in Loop: Header=BB1_1 Depth=1
	v_mov_b32_e32 v1, s8
	v_mov_b32_e32 v2, s9
	s_add_i32 s8, s4, 0x64
	s_mov_b32 s9, s5
	global_store_dwordx2 v0, v[1:2], s[2:3]
.LBB1_201:                              ;   Parent Loop BB1_1 Depth=1
                                        ; =>  This Inner Loop Header: Depth=2
	global_load_dwordx2 v[1:2], v0, s[0:1] glc
	s_waitcnt vmcnt(0)
	v_cmp_ne_u64_e32 vcc, s[8:9], v[1:2]
	s_cbranch_vccnz .LBB1_201
; %bb.202:                              ;   in Loop: Header=BB1_1 Depth=1
	v_mov_b32_e32 v1, s8
	v_mov_b32_e32 v2, s9
	s_add_i32 s8, s4, 0x65
	s_mov_b32 s9, s5
	global_store_dwordx2 v0, v[1:2], s[2:3]
.LBB1_203:                              ;   Parent Loop BB1_1 Depth=1
                                        ; =>  This Inner Loop Header: Depth=2
	global_load_dwordx2 v[1:2], v0, s[0:1] glc
	s_waitcnt vmcnt(0)
	v_cmp_ne_u64_e32 vcc, s[8:9], v[1:2]
	s_cbranch_vccnz .LBB1_203
; %bb.204:                              ;   in Loop: Header=BB1_1 Depth=1
	v_mov_b32_e32 v1, s8
	v_mov_b32_e32 v2, s9
	s_add_i32 s8, s4, 0x66
	s_mov_b32 s9, s5
	global_store_dwordx2 v0, v[1:2], s[2:3]
.LBB1_205:                              ;   Parent Loop BB1_1 Depth=1
                                        ; =>  This Inner Loop Header: Depth=2
	global_load_dwordx2 v[1:2], v0, s[0:1] glc
	s_waitcnt vmcnt(0)
	v_cmp_ne_u64_e32 vcc, s[8:9], v[1:2]
	s_cbranch_vccnz .LBB1_205
; %bb.206:                              ;   in Loop: Header=BB1_1 Depth=1
	v_mov_b32_e32 v1, s8
	v_mov_b32_e32 v2, s9
	s_add_i32 s8, s4, 0x67
	s_mov_b32 s9, s5
	global_store_dwordx2 v0, v[1:2], s[2:3]
.LBB1_207:                              ;   Parent Loop BB1_1 Depth=1
                                        ; =>  This Inner Loop Header: Depth=2
	global_load_dwordx2 v[1:2], v0, s[0:1] glc
	s_waitcnt vmcnt(0)
	v_cmp_ne_u64_e32 vcc, s[8:9], v[1:2]
	s_cbranch_vccnz .LBB1_207
; %bb.208:                              ;   in Loop: Header=BB1_1 Depth=1
	v_mov_b32_e32 v1, s8
	v_mov_b32_e32 v2, s9
	s_add_i32 s8, s4, 0x68
	s_mov_b32 s9, s5
	global_store_dwordx2 v0, v[1:2], s[2:3]
.LBB1_209:                              ;   Parent Loop BB1_1 Depth=1
                                        ; =>  This Inner Loop Header: Depth=2
	global_load_dwordx2 v[1:2], v0, s[0:1] glc
	s_waitcnt vmcnt(0)
	v_cmp_ne_u64_e32 vcc, s[8:9], v[1:2]
	s_cbranch_vccnz .LBB1_209
; %bb.210:                              ;   in Loop: Header=BB1_1 Depth=1
	v_mov_b32_e32 v1, s8
	v_mov_b32_e32 v2, s9
	s_add_i32 s8, s4, 0x69
	s_mov_b32 s9, s5
	global_store_dwordx2 v0, v[1:2], s[2:3]
.LBB1_211:                              ;   Parent Loop BB1_1 Depth=1
                                        ; =>  This Inner Loop Header: Depth=2
	global_load_dwordx2 v[1:2], v0, s[0:1] glc
	s_waitcnt vmcnt(0)
	v_cmp_ne_u64_e32 vcc, s[8:9], v[1:2]
	s_cbranch_vccnz .LBB1_211
; %bb.212:                              ;   in Loop: Header=BB1_1 Depth=1
	v_mov_b32_e32 v1, s8
	v_mov_b32_e32 v2, s9
	s_add_i32 s8, s4, 0x6a
	s_mov_b32 s9, s5
	global_store_dwordx2 v0, v[1:2], s[2:3]
.LBB1_213:                              ;   Parent Loop BB1_1 Depth=1
                                        ; =>  This Inner Loop Header: Depth=2
	global_load_dwordx2 v[1:2], v0, s[0:1] glc
	s_waitcnt vmcnt(0)
	v_cmp_ne_u64_e32 vcc, s[8:9], v[1:2]
	s_cbranch_vccnz .LBB1_213
; %bb.214:                              ;   in Loop: Header=BB1_1 Depth=1
	v_mov_b32_e32 v1, s8
	v_mov_b32_e32 v2, s9
	s_add_i32 s8, s4, 0x6b
	s_mov_b32 s9, s5
	global_store_dwordx2 v0, v[1:2], s[2:3]
.LBB1_215:                              ;   Parent Loop BB1_1 Depth=1
                                        ; =>  This Inner Loop Header: Depth=2
	global_load_dwordx2 v[1:2], v0, s[0:1] glc
	s_waitcnt vmcnt(0)
	v_cmp_ne_u64_e32 vcc, s[8:9], v[1:2]
	s_cbranch_vccnz .LBB1_215
; %bb.216:                              ;   in Loop: Header=BB1_1 Depth=1
	v_mov_b32_e32 v1, s8
	v_mov_b32_e32 v2, s9
	s_add_i32 s8, s4, 0x6c
	s_mov_b32 s9, s5
	global_store_dwordx2 v0, v[1:2], s[2:3]
.LBB1_217:                              ;   Parent Loop BB1_1 Depth=1
                                        ; =>  This Inner Loop Header: Depth=2
	global_load_dwordx2 v[1:2], v0, s[0:1] glc
	s_waitcnt vmcnt(0)
	v_cmp_ne_u64_e32 vcc, s[8:9], v[1:2]
	s_cbranch_vccnz .LBB1_217
; %bb.218:                              ;   in Loop: Header=BB1_1 Depth=1
	v_mov_b32_e32 v1, s8
	v_mov_b32_e32 v2, s9
	s_add_i32 s8, s4, 0x6d
	s_mov_b32 s9, s5
	global_store_dwordx2 v0, v[1:2], s[2:3]
.LBB1_219:                              ;   Parent Loop BB1_1 Depth=1
                                        ; =>  This Inner Loop Header: Depth=2
	global_load_dwordx2 v[1:2], v0, s[0:1] glc
	s_waitcnt vmcnt(0)
	v_cmp_ne_u64_e32 vcc, s[8:9], v[1:2]
	s_cbranch_vccnz .LBB1_219
; %bb.220:                              ;   in Loop: Header=BB1_1 Depth=1
	v_mov_b32_e32 v1, s8
	v_mov_b32_e32 v2, s9
	s_add_i32 s8, s4, 0x6e
	s_mov_b32 s9, s5
	global_store_dwordx2 v0, v[1:2], s[2:3]
.LBB1_221:                              ;   Parent Loop BB1_1 Depth=1
                                        ; =>  This Inner Loop Header: Depth=2
	global_load_dwordx2 v[1:2], v0, s[0:1] glc
	s_waitcnt vmcnt(0)
	v_cmp_ne_u64_e32 vcc, s[8:9], v[1:2]
	s_cbranch_vccnz .LBB1_221
; %bb.222:                              ;   in Loop: Header=BB1_1 Depth=1
	v_mov_b32_e32 v1, s8
	v_mov_b32_e32 v2, s9
	s_add_i32 s8, s4, 0x6f
	s_mov_b32 s9, s5
	global_store_dwordx2 v0, v[1:2], s[2:3]
.LBB1_223:                              ;   Parent Loop BB1_1 Depth=1
                                        ; =>  This Inner Loop Header: Depth=2
	global_load_dwordx2 v[1:2], v0, s[0:1] glc
	s_waitcnt vmcnt(0)
	v_cmp_ne_u64_e32 vcc, s[8:9], v[1:2]
	s_cbranch_vccnz .LBB1_223
; %bb.224:                              ;   in Loop: Header=BB1_1 Depth=1
	v_mov_b32_e32 v1, s8
	v_mov_b32_e32 v2, s9
	s_add_i32 s8, s4, 0x70
	s_mov_b32 s9, s5
	global_store_dwordx2 v0, v[1:2], s[2:3]
.LBB1_225:                              ;   Parent Loop BB1_1 Depth=1
                                        ; =>  This Inner Loop Header: Depth=2
	global_load_dwordx2 v[1:2], v0, s[0:1] glc
	s_waitcnt vmcnt(0)
	v_cmp_ne_u64_e32 vcc, s[8:9], v[1:2]
	s_cbranch_vccnz .LBB1_225
; %bb.226:                              ;   in Loop: Header=BB1_1 Depth=1
	v_mov_b32_e32 v1, s8
	v_mov_b32_e32 v2, s9
	s_add_i32 s8, s4, 0x71
	s_mov_b32 s9, s5
	global_store_dwordx2 v0, v[1:2], s[2:3]
.LBB1_227:                              ;   Parent Loop BB1_1 Depth=1
                                        ; =>  This Inner Loop Header: Depth=2
	global_load_dwordx2 v[1:2], v0, s[0:1] glc
	s_waitcnt vmcnt(0)
	v_cmp_ne_u64_e32 vcc, s[8:9], v[1:2]
	s_cbranch_vccnz .LBB1_227
; %bb.228:                              ;   in Loop: Header=BB1_1 Depth=1
	v_mov_b32_e32 v1, s8
	v_mov_b32_e32 v2, s9
	s_add_i32 s8, s4, 0x72
	s_mov_b32 s9, s5
	global_store_dwordx2 v0, v[1:2], s[2:3]
.LBB1_229:                              ;   Parent Loop BB1_1 Depth=1
                                        ; =>  This Inner Loop Header: Depth=2
	global_load_dwordx2 v[1:2], v0, s[0:1] glc
	s_waitcnt vmcnt(0)
	v_cmp_ne_u64_e32 vcc, s[8:9], v[1:2]
	s_cbranch_vccnz .LBB1_229
; %bb.230:                              ;   in Loop: Header=BB1_1 Depth=1
	v_mov_b32_e32 v1, s8
	v_mov_b32_e32 v2, s9
	s_add_i32 s8, s4, 0x73
	s_mov_b32 s9, s5
	global_store_dwordx2 v0, v[1:2], s[2:3]
.LBB1_231:                              ;   Parent Loop BB1_1 Depth=1
                                        ; =>  This Inner Loop Header: Depth=2
	global_load_dwordx2 v[1:2], v0, s[0:1] glc
	s_waitcnt vmcnt(0)
	v_cmp_ne_u64_e32 vcc, s[8:9], v[1:2]
	s_cbranch_vccnz .LBB1_231
; %bb.232:                              ;   in Loop: Header=BB1_1 Depth=1
	v_mov_b32_e32 v1, s8
	v_mov_b32_e32 v2, s9
	s_add_i32 s8, s4, 0x74
	s_mov_b32 s9, s5
	global_store_dwordx2 v0, v[1:2], s[2:3]
.LBB1_233:                              ;   Parent Loop BB1_1 Depth=1
                                        ; =>  This Inner Loop Header: Depth=2
	global_load_dwordx2 v[1:2], v0, s[0:1] glc
	s_waitcnt vmcnt(0)
	v_cmp_ne_u64_e32 vcc, s[8:9], v[1:2]
	s_cbranch_vccnz .LBB1_233
; %bb.234:                              ;   in Loop: Header=BB1_1 Depth=1
	v_mov_b32_e32 v1, s8
	v_mov_b32_e32 v2, s9
	s_add_i32 s8, s4, 0x75
	s_mov_b32 s9, s5
	global_store_dwordx2 v0, v[1:2], s[2:3]
.LBB1_235:                              ;   Parent Loop BB1_1 Depth=1
                                        ; =>  This Inner Loop Header: Depth=2
	global_load_dwordx2 v[1:2], v0, s[0:1] glc
	s_waitcnt vmcnt(0)
	v_cmp_ne_u64_e32 vcc, s[8:9], v[1:2]
	s_cbranch_vccnz .LBB1_235
; %bb.236:                              ;   in Loop: Header=BB1_1 Depth=1
	v_mov_b32_e32 v1, s8
	v_mov_b32_e32 v2, s9
	s_add_i32 s8, s4, 0x76
	s_mov_b32 s9, s5
	global_store_dwordx2 v0, v[1:2], s[2:3]
.LBB1_237:                              ;   Parent Loop BB1_1 Depth=1
                                        ; =>  This Inner Loop Header: Depth=2
	global_load_dwordx2 v[1:2], v0, s[0:1] glc
	s_waitcnt vmcnt(0)
	v_cmp_ne_u64_e32 vcc, s[8:9], v[1:2]
	s_cbranch_vccnz .LBB1_237
; %bb.238:                              ;   in Loop: Header=BB1_1 Depth=1
	v_mov_b32_e32 v1, s8
	v_mov_b32_e32 v2, s9
	s_add_i32 s8, s4, 0x77
	s_mov_b32 s9, s5
	global_store_dwordx2 v0, v[1:2], s[2:3]
.LBB1_239:                              ;   Parent Loop BB1_1 Depth=1
                                        ; =>  This Inner Loop Header: Depth=2
	global_load_dwordx2 v[1:2], v0, s[0:1] glc
	s_waitcnt vmcnt(0)
	v_cmp_ne_u64_e32 vcc, s[8:9], v[1:2]
	s_cbranch_vccnz .LBB1_239
; %bb.240:                              ;   in Loop: Header=BB1_1 Depth=1
	v_mov_b32_e32 v1, s8
	v_mov_b32_e32 v2, s9
	s_add_i32 s8, s4, 0x78
	s_mov_b32 s9, s5
	global_store_dwordx2 v0, v[1:2], s[2:3]
.LBB1_241:                              ;   Parent Loop BB1_1 Depth=1
                                        ; =>  This Inner Loop Header: Depth=2
	global_load_dwordx2 v[1:2], v0, s[0:1] glc
	s_waitcnt vmcnt(0)
	v_cmp_ne_u64_e32 vcc, s[8:9], v[1:2]
	s_cbranch_vccnz .LBB1_241
; %bb.242:                              ;   in Loop: Header=BB1_1 Depth=1
	v_mov_b32_e32 v1, s8
	v_mov_b32_e32 v2, s9
	s_add_i32 s8, s4, 0x79
	s_mov_b32 s9, s5
	global_store_dwordx2 v0, v[1:2], s[2:3]
.LBB1_243:                              ;   Parent Loop BB1_1 Depth=1
                                        ; =>  This Inner Loop Header: Depth=2
	global_load_dwordx2 v[1:2], v0, s[0:1] glc
	s_waitcnt vmcnt(0)
	v_cmp_ne_u64_e32 vcc, s[8:9], v[1:2]
	s_cbranch_vccnz .LBB1_243
; %bb.244:                              ;   in Loop: Header=BB1_1 Depth=1
	v_mov_b32_e32 v1, s8
	v_mov_b32_e32 v2, s9
	s_add_i32 s8, s4, 0x7a
	s_mov_b32 s9, s5
	global_store_dwordx2 v0, v[1:2], s[2:3]
.LBB1_245:                              ;   Parent Loop BB1_1 Depth=1
                                        ; =>  This Inner Loop Header: Depth=2
	global_load_dwordx2 v[1:2], v0, s[0:1] glc
	s_waitcnt vmcnt(0)
	v_cmp_ne_u64_e32 vcc, s[8:9], v[1:2]
	s_cbranch_vccnz .LBB1_245
; %bb.246:                              ;   in Loop: Header=BB1_1 Depth=1
	v_mov_b32_e32 v1, s8
	v_mov_b32_e32 v2, s9
	s_add_i32 s8, s4, 0x7b
	s_mov_b32 s9, s5
	global_store_dwordx2 v0, v[1:2], s[2:3]
.LBB1_247:                              ;   Parent Loop BB1_1 Depth=1
                                        ; =>  This Inner Loop Header: Depth=2
	global_load_dwordx2 v[1:2], v0, s[0:1] glc
	s_waitcnt vmcnt(0)
	v_cmp_ne_u64_e32 vcc, s[8:9], v[1:2]
	s_cbranch_vccnz .LBB1_247
; %bb.248:                              ;   in Loop: Header=BB1_1 Depth=1
	v_mov_b32_e32 v1, s8
	v_mov_b32_e32 v2, s9
	s_add_i32 s8, s4, 0x7c
	s_mov_b32 s9, s5
	global_store_dwordx2 v0, v[1:2], s[2:3]
.LBB1_249:                              ;   Parent Loop BB1_1 Depth=1
                                        ; =>  This Inner Loop Header: Depth=2
	global_load_dwordx2 v[1:2], v0, s[0:1] glc
	s_waitcnt vmcnt(0)
	v_cmp_ne_u64_e32 vcc, s[8:9], v[1:2]
	s_cbranch_vccnz .LBB1_249
; %bb.250:                              ;   in Loop: Header=BB1_1 Depth=1
	v_mov_b32_e32 v1, s8
	v_mov_b32_e32 v2, s9
	s_add_i32 s8, s4, 0x7d
	s_mov_b32 s9, s5
	global_store_dwordx2 v0, v[1:2], s[2:3]
.LBB1_251:                              ;   Parent Loop BB1_1 Depth=1
                                        ; =>  This Inner Loop Header: Depth=2
	global_load_dwordx2 v[1:2], v0, s[0:1] glc
	s_waitcnt vmcnt(0)
	v_cmp_ne_u64_e32 vcc, s[8:9], v[1:2]
	s_cbranch_vccnz .LBB1_251
; %bb.252:                              ;   in Loop: Header=BB1_1 Depth=1
	v_mov_b32_e32 v1, s8
	v_mov_b32_e32 v2, s9
	s_add_i32 s8, s4, 0x7e
	s_mov_b32 s9, s5
	global_store_dwordx2 v0, v[1:2], s[2:3]
.LBB1_253:                              ;   Parent Loop BB1_1 Depth=1
                                        ; =>  This Inner Loop Header: Depth=2
	global_load_dwordx2 v[1:2], v0, s[0:1] glc
	s_waitcnt vmcnt(0)
	v_cmp_ne_u64_e32 vcc, s[8:9], v[1:2]
	s_cbranch_vccnz .LBB1_253
; %bb.254:                              ;   in Loop: Header=BB1_1 Depth=1
	v_mov_b32_e32 v1, s8
	v_mov_b32_e32 v2, s9
	s_add_i32 s8, s4, 0x7f
	s_mov_b32 s9, s5
	global_store_dwordx2 v0, v[1:2], s[2:3]
.LBB1_255:                              ;   Parent Loop BB1_1 Depth=1
                                        ; =>  This Inner Loop Header: Depth=2
	global_load_dwordx2 v[1:2], v0, s[0:1] glc
	s_waitcnt vmcnt(0)
	v_cmp_ne_u64_e32 vcc, s[8:9], v[1:2]
	s_cbranch_vccnz .LBB1_255
; %bb.256:                              ;   in Loop: Header=BB1_1 Depth=1
	v_mov_b32_e32 v1, s8
	v_mov_b32_e32 v2, s9
	s_add_i32 s8, s4, 0x80
	s_mov_b32 s9, s5
	global_store_dwordx2 v0, v[1:2], s[2:3]
.LBB1_257:                              ;   Parent Loop BB1_1 Depth=1
                                        ; =>  This Inner Loop Header: Depth=2
	global_load_dwordx2 v[1:2], v0, s[0:1] glc
	s_waitcnt vmcnt(0)
	v_cmp_ne_u64_e32 vcc, s[8:9], v[1:2]
	s_cbranch_vccnz .LBB1_257
; %bb.258:                              ;   in Loop: Header=BB1_1 Depth=1
	v_mov_b32_e32 v1, s8
	v_mov_b32_e32 v2, s9
	s_add_i32 s8, s4, 0x81
	s_mov_b32 s9, s5
	global_store_dwordx2 v0, v[1:2], s[2:3]
.LBB1_259:                              ;   Parent Loop BB1_1 Depth=1
                                        ; =>  This Inner Loop Header: Depth=2
	global_load_dwordx2 v[1:2], v0, s[0:1] glc
	s_waitcnt vmcnt(0)
	v_cmp_ne_u64_e32 vcc, s[8:9], v[1:2]
	s_cbranch_vccnz .LBB1_259
; %bb.260:                              ;   in Loop: Header=BB1_1 Depth=1
	v_mov_b32_e32 v1, s8
	v_mov_b32_e32 v2, s9
	s_add_i32 s8, s4, 0x82
	s_mov_b32 s9, s5
	global_store_dwordx2 v0, v[1:2], s[2:3]
.LBB1_261:                              ;   Parent Loop BB1_1 Depth=1
                                        ; =>  This Inner Loop Header: Depth=2
	global_load_dwordx2 v[1:2], v0, s[0:1] glc
	s_waitcnt vmcnt(0)
	v_cmp_ne_u64_e32 vcc, s[8:9], v[1:2]
	s_cbranch_vccnz .LBB1_261
; %bb.262:                              ;   in Loop: Header=BB1_1 Depth=1
	v_mov_b32_e32 v1, s8
	v_mov_b32_e32 v2, s9
	s_add_i32 s8, s4, 0x83
	s_mov_b32 s9, s5
	global_store_dwordx2 v0, v[1:2], s[2:3]
.LBB1_263:                              ;   Parent Loop BB1_1 Depth=1
                                        ; =>  This Inner Loop Header: Depth=2
	global_load_dwordx2 v[1:2], v0, s[0:1] glc
	s_waitcnt vmcnt(0)
	v_cmp_ne_u64_e32 vcc, s[8:9], v[1:2]
	s_cbranch_vccnz .LBB1_263
; %bb.264:                              ;   in Loop: Header=BB1_1 Depth=1
	v_mov_b32_e32 v1, s8
	v_mov_b32_e32 v2, s9
	s_add_i32 s8, s4, 0x84
	s_mov_b32 s9, s5
	global_store_dwordx2 v0, v[1:2], s[2:3]
.LBB1_265:                              ;   Parent Loop BB1_1 Depth=1
                                        ; =>  This Inner Loop Header: Depth=2
	global_load_dwordx2 v[1:2], v0, s[0:1] glc
	s_waitcnt vmcnt(0)
	v_cmp_ne_u64_e32 vcc, s[8:9], v[1:2]
	s_cbranch_vccnz .LBB1_265
; %bb.266:                              ;   in Loop: Header=BB1_1 Depth=1
	v_mov_b32_e32 v1, s8
	v_mov_b32_e32 v2, s9
	s_add_i32 s8, s4, 0x85
	s_mov_b32 s9, s5
	global_store_dwordx2 v0, v[1:2], s[2:3]
.LBB1_267:                              ;   Parent Loop BB1_1 Depth=1
                                        ; =>  This Inner Loop Header: Depth=2
	global_load_dwordx2 v[1:2], v0, s[0:1] glc
	s_waitcnt vmcnt(0)
	v_cmp_ne_u64_e32 vcc, s[8:9], v[1:2]
	s_cbranch_vccnz .LBB1_267
; %bb.268:                              ;   in Loop: Header=BB1_1 Depth=1
	v_mov_b32_e32 v1, s8
	v_mov_b32_e32 v2, s9
	s_add_i32 s8, s4, 0x86
	s_mov_b32 s9, s5
	global_store_dwordx2 v0, v[1:2], s[2:3]
.LBB1_269:                              ;   Parent Loop BB1_1 Depth=1
                                        ; =>  This Inner Loop Header: Depth=2
	global_load_dwordx2 v[1:2], v0, s[0:1] glc
	s_waitcnt vmcnt(0)
	v_cmp_ne_u64_e32 vcc, s[8:9], v[1:2]
	s_cbranch_vccnz .LBB1_269
; %bb.270:                              ;   in Loop: Header=BB1_1 Depth=1
	v_mov_b32_e32 v1, s8
	v_mov_b32_e32 v2, s9
	s_add_i32 s8, s4, 0x87
	s_mov_b32 s9, s5
	global_store_dwordx2 v0, v[1:2], s[2:3]
.LBB1_271:                              ;   Parent Loop BB1_1 Depth=1
                                        ; =>  This Inner Loop Header: Depth=2
	global_load_dwordx2 v[1:2], v0, s[0:1] glc
	s_waitcnt vmcnt(0)
	v_cmp_ne_u64_e32 vcc, s[8:9], v[1:2]
	s_cbranch_vccnz .LBB1_271
; %bb.272:                              ;   in Loop: Header=BB1_1 Depth=1
	v_mov_b32_e32 v1, s8
	v_mov_b32_e32 v2, s9
	s_add_i32 s8, s4, 0x88
	s_mov_b32 s9, s5
	global_store_dwordx2 v0, v[1:2], s[2:3]
.LBB1_273:                              ;   Parent Loop BB1_1 Depth=1
                                        ; =>  This Inner Loop Header: Depth=2
	global_load_dwordx2 v[1:2], v0, s[0:1] glc
	s_waitcnt vmcnt(0)
	v_cmp_ne_u64_e32 vcc, s[8:9], v[1:2]
	s_cbranch_vccnz .LBB1_273
; %bb.274:                              ;   in Loop: Header=BB1_1 Depth=1
	v_mov_b32_e32 v1, s8
	v_mov_b32_e32 v2, s9
	s_add_i32 s8, s4, 0x89
	s_mov_b32 s9, s5
	global_store_dwordx2 v0, v[1:2], s[2:3]
.LBB1_275:                              ;   Parent Loop BB1_1 Depth=1
                                        ; =>  This Inner Loop Header: Depth=2
	global_load_dwordx2 v[1:2], v0, s[0:1] glc
	s_waitcnt vmcnt(0)
	v_cmp_ne_u64_e32 vcc, s[8:9], v[1:2]
	s_cbranch_vccnz .LBB1_275
; %bb.276:                              ;   in Loop: Header=BB1_1 Depth=1
	v_mov_b32_e32 v1, s8
	v_mov_b32_e32 v2, s9
	s_add_i32 s8, s4, 0x8a
	s_mov_b32 s9, s5
	global_store_dwordx2 v0, v[1:2], s[2:3]
.LBB1_277:                              ;   Parent Loop BB1_1 Depth=1
                                        ; =>  This Inner Loop Header: Depth=2
	global_load_dwordx2 v[1:2], v0, s[0:1] glc
	s_waitcnt vmcnt(0)
	v_cmp_ne_u64_e32 vcc, s[8:9], v[1:2]
	s_cbranch_vccnz .LBB1_277
; %bb.278:                              ;   in Loop: Header=BB1_1 Depth=1
	v_mov_b32_e32 v1, s8
	v_mov_b32_e32 v2, s9
	s_add_i32 s8, s4, 0x8b
	s_mov_b32 s9, s5
	global_store_dwordx2 v0, v[1:2], s[2:3]
.LBB1_279:                              ;   Parent Loop BB1_1 Depth=1
                                        ; =>  This Inner Loop Header: Depth=2
	global_load_dwordx2 v[1:2], v0, s[0:1] glc
	s_waitcnt vmcnt(0)
	v_cmp_ne_u64_e32 vcc, s[8:9], v[1:2]
	s_cbranch_vccnz .LBB1_279
; %bb.280:                              ;   in Loop: Header=BB1_1 Depth=1
	v_mov_b32_e32 v1, s8
	v_mov_b32_e32 v2, s9
	s_add_i32 s8, s4, 0x8c
	s_mov_b32 s9, s5
	global_store_dwordx2 v0, v[1:2], s[2:3]
.LBB1_281:                              ;   Parent Loop BB1_1 Depth=1
                                        ; =>  This Inner Loop Header: Depth=2
	global_load_dwordx2 v[1:2], v0, s[0:1] glc
	s_waitcnt vmcnt(0)
	v_cmp_ne_u64_e32 vcc, s[8:9], v[1:2]
	s_cbranch_vccnz .LBB1_281
; %bb.282:                              ;   in Loop: Header=BB1_1 Depth=1
	v_mov_b32_e32 v1, s8
	v_mov_b32_e32 v2, s9
	s_add_i32 s8, s4, 0x8d
	s_mov_b32 s9, s5
	global_store_dwordx2 v0, v[1:2], s[2:3]
.LBB1_283:                              ;   Parent Loop BB1_1 Depth=1
                                        ; =>  This Inner Loop Header: Depth=2
	global_load_dwordx2 v[1:2], v0, s[0:1] glc
	s_waitcnt vmcnt(0)
	v_cmp_ne_u64_e32 vcc, s[8:9], v[1:2]
	s_cbranch_vccnz .LBB1_283
; %bb.284:                              ;   in Loop: Header=BB1_1 Depth=1
	v_mov_b32_e32 v1, s8
	v_mov_b32_e32 v2, s9
	s_add_i32 s8, s4, 0x8e
	s_mov_b32 s9, s5
	global_store_dwordx2 v0, v[1:2], s[2:3]
.LBB1_285:                              ;   Parent Loop BB1_1 Depth=1
                                        ; =>  This Inner Loop Header: Depth=2
	global_load_dwordx2 v[1:2], v0, s[0:1] glc
	s_waitcnt vmcnt(0)
	v_cmp_ne_u64_e32 vcc, s[8:9], v[1:2]
	s_cbranch_vccnz .LBB1_285
; %bb.286:                              ;   in Loop: Header=BB1_1 Depth=1
	v_mov_b32_e32 v1, s8
	v_mov_b32_e32 v2, s9
	s_add_i32 s8, s4, 0x8f
	s_mov_b32 s9, s5
	global_store_dwordx2 v0, v[1:2], s[2:3]
.LBB1_287:                              ;   Parent Loop BB1_1 Depth=1
                                        ; =>  This Inner Loop Header: Depth=2
	global_load_dwordx2 v[1:2], v0, s[0:1] glc
	s_waitcnt vmcnt(0)
	v_cmp_ne_u64_e32 vcc, s[8:9], v[1:2]
	s_cbranch_vccnz .LBB1_287
; %bb.288:                              ;   in Loop: Header=BB1_1 Depth=1
	v_mov_b32_e32 v1, s8
	v_mov_b32_e32 v2, s9
	s_add_i32 s8, s4, 0x90
	s_mov_b32 s9, s5
	global_store_dwordx2 v0, v[1:2], s[2:3]
.LBB1_289:                              ;   Parent Loop BB1_1 Depth=1
                                        ; =>  This Inner Loop Header: Depth=2
	global_load_dwordx2 v[1:2], v0, s[0:1] glc
	s_waitcnt vmcnt(0)
	v_cmp_ne_u64_e32 vcc, s[8:9], v[1:2]
	s_cbranch_vccnz .LBB1_289
; %bb.290:                              ;   in Loop: Header=BB1_1 Depth=1
	v_mov_b32_e32 v1, s8
	v_mov_b32_e32 v2, s9
	s_add_i32 s8, s4, 0x91
	s_mov_b32 s9, s5
	global_store_dwordx2 v0, v[1:2], s[2:3]
.LBB1_291:                              ;   Parent Loop BB1_1 Depth=1
                                        ; =>  This Inner Loop Header: Depth=2
	global_load_dwordx2 v[1:2], v0, s[0:1] glc
	s_waitcnt vmcnt(0)
	v_cmp_ne_u64_e32 vcc, s[8:9], v[1:2]
	s_cbranch_vccnz .LBB1_291
; %bb.292:                              ;   in Loop: Header=BB1_1 Depth=1
	v_mov_b32_e32 v1, s8
	v_mov_b32_e32 v2, s9
	s_add_i32 s8, s4, 0x92
	s_mov_b32 s9, s5
	global_store_dwordx2 v0, v[1:2], s[2:3]
.LBB1_293:                              ;   Parent Loop BB1_1 Depth=1
                                        ; =>  This Inner Loop Header: Depth=2
	global_load_dwordx2 v[1:2], v0, s[0:1] glc
	s_waitcnt vmcnt(0)
	v_cmp_ne_u64_e32 vcc, s[8:9], v[1:2]
	s_cbranch_vccnz .LBB1_293
; %bb.294:                              ;   in Loop: Header=BB1_1 Depth=1
	v_mov_b32_e32 v1, s8
	v_mov_b32_e32 v2, s9
	s_add_i32 s8, s4, 0x93
	s_mov_b32 s9, s5
	global_store_dwordx2 v0, v[1:2], s[2:3]
.LBB1_295:                              ;   Parent Loop BB1_1 Depth=1
                                        ; =>  This Inner Loop Header: Depth=2
	global_load_dwordx2 v[1:2], v0, s[0:1] glc
	s_waitcnt vmcnt(0)
	v_cmp_ne_u64_e32 vcc, s[8:9], v[1:2]
	s_cbranch_vccnz .LBB1_295
; %bb.296:                              ;   in Loop: Header=BB1_1 Depth=1
	v_mov_b32_e32 v1, s8
	v_mov_b32_e32 v2, s9
	s_add_i32 s8, s4, 0x94
	s_mov_b32 s9, s5
	global_store_dwordx2 v0, v[1:2], s[2:3]
.LBB1_297:                              ;   Parent Loop BB1_1 Depth=1
                                        ; =>  This Inner Loop Header: Depth=2
	global_load_dwordx2 v[1:2], v0, s[0:1] glc
	s_waitcnt vmcnt(0)
	v_cmp_ne_u64_e32 vcc, s[8:9], v[1:2]
	s_cbranch_vccnz .LBB1_297
; %bb.298:                              ;   in Loop: Header=BB1_1 Depth=1
	v_mov_b32_e32 v1, s8
	v_mov_b32_e32 v2, s9
	s_add_i32 s8, s4, 0x95
	s_mov_b32 s9, s5
	global_store_dwordx2 v0, v[1:2], s[2:3]
.LBB1_299:                              ;   Parent Loop BB1_1 Depth=1
                                        ; =>  This Inner Loop Header: Depth=2
	global_load_dwordx2 v[1:2], v0, s[0:1] glc
	s_waitcnt vmcnt(0)
	v_cmp_ne_u64_e32 vcc, s[8:9], v[1:2]
	s_cbranch_vccnz .LBB1_299
; %bb.300:                              ;   in Loop: Header=BB1_1 Depth=1
	v_mov_b32_e32 v1, s8
	v_mov_b32_e32 v2, s9
	s_add_i32 s8, s4, 0x96
	s_mov_b32 s9, s5
	global_store_dwordx2 v0, v[1:2], s[2:3]
.LBB1_301:                              ;   Parent Loop BB1_1 Depth=1
                                        ; =>  This Inner Loop Header: Depth=2
	global_load_dwordx2 v[1:2], v0, s[0:1] glc
	s_waitcnt vmcnt(0)
	v_cmp_ne_u64_e32 vcc, s[8:9], v[1:2]
	s_cbranch_vccnz .LBB1_301
; %bb.302:                              ;   in Loop: Header=BB1_1 Depth=1
	v_mov_b32_e32 v1, s8
	v_mov_b32_e32 v2, s9
	s_add_i32 s8, s4, 0x97
	s_mov_b32 s9, s5
	global_store_dwordx2 v0, v[1:2], s[2:3]
.LBB1_303:                              ;   Parent Loop BB1_1 Depth=1
                                        ; =>  This Inner Loop Header: Depth=2
	global_load_dwordx2 v[1:2], v0, s[0:1] glc
	s_waitcnt vmcnt(0)
	v_cmp_ne_u64_e32 vcc, s[8:9], v[1:2]
	s_cbranch_vccnz .LBB1_303
; %bb.304:                              ;   in Loop: Header=BB1_1 Depth=1
	v_mov_b32_e32 v1, s8
	v_mov_b32_e32 v2, s9
	s_add_i32 s8, s4, 0x98
	s_mov_b32 s9, s5
	global_store_dwordx2 v0, v[1:2], s[2:3]
.LBB1_305:                              ;   Parent Loop BB1_1 Depth=1
                                        ; =>  This Inner Loop Header: Depth=2
	global_load_dwordx2 v[1:2], v0, s[0:1] glc
	s_waitcnt vmcnt(0)
	v_cmp_ne_u64_e32 vcc, s[8:9], v[1:2]
	s_cbranch_vccnz .LBB1_305
; %bb.306:                              ;   in Loop: Header=BB1_1 Depth=1
	v_mov_b32_e32 v1, s8
	v_mov_b32_e32 v2, s9
	s_add_i32 s8, s4, 0x99
	s_mov_b32 s9, s5
	global_store_dwordx2 v0, v[1:2], s[2:3]
.LBB1_307:                              ;   Parent Loop BB1_1 Depth=1
                                        ; =>  This Inner Loop Header: Depth=2
	global_load_dwordx2 v[1:2], v0, s[0:1] glc
	s_waitcnt vmcnt(0)
	v_cmp_ne_u64_e32 vcc, s[8:9], v[1:2]
	s_cbranch_vccnz .LBB1_307
; %bb.308:                              ;   in Loop: Header=BB1_1 Depth=1
	v_mov_b32_e32 v1, s8
	v_mov_b32_e32 v2, s9
	s_add_i32 s8, s4, 0x9a
	s_mov_b32 s9, s5
	global_store_dwordx2 v0, v[1:2], s[2:3]
.LBB1_309:                              ;   Parent Loop BB1_1 Depth=1
                                        ; =>  This Inner Loop Header: Depth=2
	global_load_dwordx2 v[1:2], v0, s[0:1] glc
	s_waitcnt vmcnt(0)
	v_cmp_ne_u64_e32 vcc, s[8:9], v[1:2]
	s_cbranch_vccnz .LBB1_309
; %bb.310:                              ;   in Loop: Header=BB1_1 Depth=1
	v_mov_b32_e32 v1, s8
	v_mov_b32_e32 v2, s9
	s_add_i32 s8, s4, 0x9b
	s_mov_b32 s9, s5
	global_store_dwordx2 v0, v[1:2], s[2:3]
.LBB1_311:                              ;   Parent Loop BB1_1 Depth=1
                                        ; =>  This Inner Loop Header: Depth=2
	global_load_dwordx2 v[1:2], v0, s[0:1] glc
	s_waitcnt vmcnt(0)
	v_cmp_ne_u64_e32 vcc, s[8:9], v[1:2]
	s_cbranch_vccnz .LBB1_311
; %bb.312:                              ;   in Loop: Header=BB1_1 Depth=1
	v_mov_b32_e32 v1, s8
	v_mov_b32_e32 v2, s9
	s_add_i32 s8, s4, 0x9c
	s_mov_b32 s9, s5
	global_store_dwordx2 v0, v[1:2], s[2:3]
.LBB1_313:                              ;   Parent Loop BB1_1 Depth=1
                                        ; =>  This Inner Loop Header: Depth=2
	global_load_dwordx2 v[1:2], v0, s[0:1] glc
	s_waitcnt vmcnt(0)
	v_cmp_ne_u64_e32 vcc, s[8:9], v[1:2]
	s_cbranch_vccnz .LBB1_313
; %bb.314:                              ;   in Loop: Header=BB1_1 Depth=1
	v_mov_b32_e32 v1, s8
	v_mov_b32_e32 v2, s9
	s_add_i32 s8, s4, 0x9d
	s_mov_b32 s9, s5
	global_store_dwordx2 v0, v[1:2], s[2:3]
.LBB1_315:                              ;   Parent Loop BB1_1 Depth=1
                                        ; =>  This Inner Loop Header: Depth=2
	global_load_dwordx2 v[1:2], v0, s[0:1] glc
	s_waitcnt vmcnt(0)
	v_cmp_ne_u64_e32 vcc, s[8:9], v[1:2]
	s_cbranch_vccnz .LBB1_315
; %bb.316:                              ;   in Loop: Header=BB1_1 Depth=1
	v_mov_b32_e32 v1, s8
	v_mov_b32_e32 v2, s9
	s_add_i32 s8, s4, 0x9e
	s_mov_b32 s9, s5
	global_store_dwordx2 v0, v[1:2], s[2:3]
.LBB1_317:                              ;   Parent Loop BB1_1 Depth=1
                                        ; =>  This Inner Loop Header: Depth=2
	global_load_dwordx2 v[1:2], v0, s[0:1] glc
	s_waitcnt vmcnt(0)
	v_cmp_ne_u64_e32 vcc, s[8:9], v[1:2]
	s_cbranch_vccnz .LBB1_317
; %bb.318:                              ;   in Loop: Header=BB1_1 Depth=1
	v_mov_b32_e32 v1, s8
	v_mov_b32_e32 v2, s9
	s_add_i32 s8, s4, 0x9f
	s_mov_b32 s9, s5
	global_store_dwordx2 v0, v[1:2], s[2:3]
.LBB1_319:                              ;   Parent Loop BB1_1 Depth=1
                                        ; =>  This Inner Loop Header: Depth=2
	global_load_dwordx2 v[1:2], v0, s[0:1] glc
	s_waitcnt vmcnt(0)
	v_cmp_ne_u64_e32 vcc, s[8:9], v[1:2]
	s_cbranch_vccnz .LBB1_319
; %bb.320:                              ;   in Loop: Header=BB1_1 Depth=1
	v_mov_b32_e32 v1, s8
	v_mov_b32_e32 v2, s9
	s_add_i32 s8, s4, 0xa0
	s_mov_b32 s9, s5
	global_store_dwordx2 v0, v[1:2], s[2:3]
.LBB1_321:                              ;   Parent Loop BB1_1 Depth=1
                                        ; =>  This Inner Loop Header: Depth=2
	global_load_dwordx2 v[1:2], v0, s[0:1] glc
	s_waitcnt vmcnt(0)
	v_cmp_ne_u64_e32 vcc, s[8:9], v[1:2]
	s_cbranch_vccnz .LBB1_321
; %bb.322:                              ;   in Loop: Header=BB1_1 Depth=1
	v_mov_b32_e32 v1, s8
	v_mov_b32_e32 v2, s9
	s_add_i32 s8, s4, 0xa1
	s_mov_b32 s9, s5
	global_store_dwordx2 v0, v[1:2], s[2:3]
.LBB1_323:                              ;   Parent Loop BB1_1 Depth=1
                                        ; =>  This Inner Loop Header: Depth=2
	global_load_dwordx2 v[1:2], v0, s[0:1] glc
	s_waitcnt vmcnt(0)
	v_cmp_ne_u64_e32 vcc, s[8:9], v[1:2]
	s_cbranch_vccnz .LBB1_323
; %bb.324:                              ;   in Loop: Header=BB1_1 Depth=1
	v_mov_b32_e32 v1, s8
	v_mov_b32_e32 v2, s9
	s_add_i32 s8, s4, 0xa2
	s_mov_b32 s9, s5
	global_store_dwordx2 v0, v[1:2], s[2:3]
.LBB1_325:                              ;   Parent Loop BB1_1 Depth=1
                                        ; =>  This Inner Loop Header: Depth=2
	global_load_dwordx2 v[1:2], v0, s[0:1] glc
	s_waitcnt vmcnt(0)
	v_cmp_ne_u64_e32 vcc, s[8:9], v[1:2]
	s_cbranch_vccnz .LBB1_325
; %bb.326:                              ;   in Loop: Header=BB1_1 Depth=1
	v_mov_b32_e32 v1, s8
	v_mov_b32_e32 v2, s9
	s_add_i32 s8, s4, 0xa3
	s_mov_b32 s9, s5
	global_store_dwordx2 v0, v[1:2], s[2:3]
.LBB1_327:                              ;   Parent Loop BB1_1 Depth=1
                                        ; =>  This Inner Loop Header: Depth=2
	global_load_dwordx2 v[1:2], v0, s[0:1] glc
	s_waitcnt vmcnt(0)
	v_cmp_ne_u64_e32 vcc, s[8:9], v[1:2]
	s_cbranch_vccnz .LBB1_327
; %bb.328:                              ;   in Loop: Header=BB1_1 Depth=1
	v_mov_b32_e32 v1, s8
	v_mov_b32_e32 v2, s9
	s_add_i32 s8, s4, 0xa4
	s_mov_b32 s9, s5
	global_store_dwordx2 v0, v[1:2], s[2:3]
.LBB1_329:                              ;   Parent Loop BB1_1 Depth=1
                                        ; =>  This Inner Loop Header: Depth=2
	global_load_dwordx2 v[1:2], v0, s[0:1] glc
	s_waitcnt vmcnt(0)
	v_cmp_ne_u64_e32 vcc, s[8:9], v[1:2]
	s_cbranch_vccnz .LBB1_329
; %bb.330:                              ;   in Loop: Header=BB1_1 Depth=1
	v_mov_b32_e32 v1, s8
	v_mov_b32_e32 v2, s9
	s_add_i32 s8, s4, 0xa5
	s_mov_b32 s9, s5
	global_store_dwordx2 v0, v[1:2], s[2:3]
.LBB1_331:                              ;   Parent Loop BB1_1 Depth=1
                                        ; =>  This Inner Loop Header: Depth=2
	global_load_dwordx2 v[1:2], v0, s[0:1] glc
	s_waitcnt vmcnt(0)
	v_cmp_ne_u64_e32 vcc, s[8:9], v[1:2]
	s_cbranch_vccnz .LBB1_331
; %bb.332:                              ;   in Loop: Header=BB1_1 Depth=1
	v_mov_b32_e32 v1, s8
	v_mov_b32_e32 v2, s9
	s_add_i32 s8, s4, 0xa6
	s_mov_b32 s9, s5
	global_store_dwordx2 v0, v[1:2], s[2:3]
.LBB1_333:                              ;   Parent Loop BB1_1 Depth=1
                                        ; =>  This Inner Loop Header: Depth=2
	global_load_dwordx2 v[1:2], v0, s[0:1] glc
	s_waitcnt vmcnt(0)
	v_cmp_ne_u64_e32 vcc, s[8:9], v[1:2]
	s_cbranch_vccnz .LBB1_333
; %bb.334:                              ;   in Loop: Header=BB1_1 Depth=1
	v_mov_b32_e32 v1, s8
	v_mov_b32_e32 v2, s9
	s_add_i32 s8, s4, 0xa7
	s_mov_b32 s9, s5
	global_store_dwordx2 v0, v[1:2], s[2:3]
.LBB1_335:                              ;   Parent Loop BB1_1 Depth=1
                                        ; =>  This Inner Loop Header: Depth=2
	global_load_dwordx2 v[1:2], v0, s[0:1] glc
	s_waitcnt vmcnt(0)
	v_cmp_ne_u64_e32 vcc, s[8:9], v[1:2]
	s_cbranch_vccnz .LBB1_335
; %bb.336:                              ;   in Loop: Header=BB1_1 Depth=1
	v_mov_b32_e32 v1, s8
	v_mov_b32_e32 v2, s9
	s_add_i32 s8, s4, 0xa8
	s_mov_b32 s9, s5
	global_store_dwordx2 v0, v[1:2], s[2:3]
.LBB1_337:                              ;   Parent Loop BB1_1 Depth=1
                                        ; =>  This Inner Loop Header: Depth=2
	global_load_dwordx2 v[1:2], v0, s[0:1] glc
	s_waitcnt vmcnt(0)
	v_cmp_ne_u64_e32 vcc, s[8:9], v[1:2]
	s_cbranch_vccnz .LBB1_337
; %bb.338:                              ;   in Loop: Header=BB1_1 Depth=1
	v_mov_b32_e32 v1, s8
	v_mov_b32_e32 v2, s9
	s_add_i32 s8, s4, 0xa9
	s_mov_b32 s9, s5
	global_store_dwordx2 v0, v[1:2], s[2:3]
.LBB1_339:                              ;   Parent Loop BB1_1 Depth=1
                                        ; =>  This Inner Loop Header: Depth=2
	global_load_dwordx2 v[1:2], v0, s[0:1] glc
	s_waitcnt vmcnt(0)
	v_cmp_ne_u64_e32 vcc, s[8:9], v[1:2]
	s_cbranch_vccnz .LBB1_339
; %bb.340:                              ;   in Loop: Header=BB1_1 Depth=1
	v_mov_b32_e32 v1, s8
	v_mov_b32_e32 v2, s9
	s_add_i32 s8, s4, 0xaa
	s_mov_b32 s9, s5
	global_store_dwordx2 v0, v[1:2], s[2:3]
.LBB1_341:                              ;   Parent Loop BB1_1 Depth=1
                                        ; =>  This Inner Loop Header: Depth=2
	global_load_dwordx2 v[1:2], v0, s[0:1] glc
	s_waitcnt vmcnt(0)
	v_cmp_ne_u64_e32 vcc, s[8:9], v[1:2]
	s_cbranch_vccnz .LBB1_341
; %bb.342:                              ;   in Loop: Header=BB1_1 Depth=1
	v_mov_b32_e32 v1, s8
	v_mov_b32_e32 v2, s9
	s_add_i32 s8, s4, 0xab
	s_mov_b32 s9, s5
	global_store_dwordx2 v0, v[1:2], s[2:3]
.LBB1_343:                              ;   Parent Loop BB1_1 Depth=1
                                        ; =>  This Inner Loop Header: Depth=2
	global_load_dwordx2 v[1:2], v0, s[0:1] glc
	s_waitcnt vmcnt(0)
	v_cmp_ne_u64_e32 vcc, s[8:9], v[1:2]
	s_cbranch_vccnz .LBB1_343
; %bb.344:                              ;   in Loop: Header=BB1_1 Depth=1
	v_mov_b32_e32 v1, s8
	v_mov_b32_e32 v2, s9
	s_add_i32 s8, s4, 0xac
	s_mov_b32 s9, s5
	global_store_dwordx2 v0, v[1:2], s[2:3]
.LBB1_345:                              ;   Parent Loop BB1_1 Depth=1
                                        ; =>  This Inner Loop Header: Depth=2
	global_load_dwordx2 v[1:2], v0, s[0:1] glc
	s_waitcnt vmcnt(0)
	v_cmp_ne_u64_e32 vcc, s[8:9], v[1:2]
	s_cbranch_vccnz .LBB1_345
; %bb.346:                              ;   in Loop: Header=BB1_1 Depth=1
	v_mov_b32_e32 v1, s8
	v_mov_b32_e32 v2, s9
	s_add_i32 s8, s4, 0xad
	s_mov_b32 s9, s5
	global_store_dwordx2 v0, v[1:2], s[2:3]
.LBB1_347:                              ;   Parent Loop BB1_1 Depth=1
                                        ; =>  This Inner Loop Header: Depth=2
	global_load_dwordx2 v[1:2], v0, s[0:1] glc
	s_waitcnt vmcnt(0)
	v_cmp_ne_u64_e32 vcc, s[8:9], v[1:2]
	s_cbranch_vccnz .LBB1_347
; %bb.348:                              ;   in Loop: Header=BB1_1 Depth=1
	v_mov_b32_e32 v1, s8
	v_mov_b32_e32 v2, s9
	s_add_i32 s8, s4, 0xae
	s_mov_b32 s9, s5
	global_store_dwordx2 v0, v[1:2], s[2:3]
.LBB1_349:                              ;   Parent Loop BB1_1 Depth=1
                                        ; =>  This Inner Loop Header: Depth=2
	global_load_dwordx2 v[1:2], v0, s[0:1] glc
	s_waitcnt vmcnt(0)
	v_cmp_ne_u64_e32 vcc, s[8:9], v[1:2]
	s_cbranch_vccnz .LBB1_349
; %bb.350:                              ;   in Loop: Header=BB1_1 Depth=1
	v_mov_b32_e32 v1, s8
	v_mov_b32_e32 v2, s9
	s_add_i32 s8, s4, 0xaf
	s_mov_b32 s9, s5
	global_store_dwordx2 v0, v[1:2], s[2:3]
.LBB1_351:                              ;   Parent Loop BB1_1 Depth=1
                                        ; =>  This Inner Loop Header: Depth=2
	global_load_dwordx2 v[1:2], v0, s[0:1] glc
	s_waitcnt vmcnt(0)
	v_cmp_ne_u64_e32 vcc, s[8:9], v[1:2]
	s_cbranch_vccnz .LBB1_351
; %bb.352:                              ;   in Loop: Header=BB1_1 Depth=1
	v_mov_b32_e32 v1, s8
	v_mov_b32_e32 v2, s9
	s_add_i32 s8, s4, 0xb0
	s_mov_b32 s9, s5
	global_store_dwordx2 v0, v[1:2], s[2:3]
.LBB1_353:                              ;   Parent Loop BB1_1 Depth=1
                                        ; =>  This Inner Loop Header: Depth=2
	global_load_dwordx2 v[1:2], v0, s[0:1] glc
	s_waitcnt vmcnt(0)
	v_cmp_ne_u64_e32 vcc, s[8:9], v[1:2]
	s_cbranch_vccnz .LBB1_353
; %bb.354:                              ;   in Loop: Header=BB1_1 Depth=1
	v_mov_b32_e32 v1, s8
	v_mov_b32_e32 v2, s9
	s_add_i32 s8, s4, 0xb1
	s_mov_b32 s9, s5
	global_store_dwordx2 v0, v[1:2], s[2:3]
.LBB1_355:                              ;   Parent Loop BB1_1 Depth=1
                                        ; =>  This Inner Loop Header: Depth=2
	global_load_dwordx2 v[1:2], v0, s[0:1] glc
	s_waitcnt vmcnt(0)
	v_cmp_ne_u64_e32 vcc, s[8:9], v[1:2]
	s_cbranch_vccnz .LBB1_355
; %bb.356:                              ;   in Loop: Header=BB1_1 Depth=1
	v_mov_b32_e32 v1, s8
	v_mov_b32_e32 v2, s9
	s_add_i32 s8, s4, 0xb2
	s_mov_b32 s9, s5
	global_store_dwordx2 v0, v[1:2], s[2:3]
.LBB1_357:                              ;   Parent Loop BB1_1 Depth=1
                                        ; =>  This Inner Loop Header: Depth=2
	global_load_dwordx2 v[1:2], v0, s[0:1] glc
	s_waitcnt vmcnt(0)
	v_cmp_ne_u64_e32 vcc, s[8:9], v[1:2]
	s_cbranch_vccnz .LBB1_357
; %bb.358:                              ;   in Loop: Header=BB1_1 Depth=1
	v_mov_b32_e32 v1, s8
	v_mov_b32_e32 v2, s9
	s_add_i32 s8, s4, 0xb3
	s_mov_b32 s9, s5
	global_store_dwordx2 v0, v[1:2], s[2:3]
.LBB1_359:                              ;   Parent Loop BB1_1 Depth=1
                                        ; =>  This Inner Loop Header: Depth=2
	global_load_dwordx2 v[1:2], v0, s[0:1] glc
	s_waitcnt vmcnt(0)
	v_cmp_ne_u64_e32 vcc, s[8:9], v[1:2]
	s_cbranch_vccnz .LBB1_359
; %bb.360:                              ;   in Loop: Header=BB1_1 Depth=1
	v_mov_b32_e32 v1, s8
	v_mov_b32_e32 v2, s9
	s_add_i32 s8, s4, 0xb4
	s_mov_b32 s9, s5
	global_store_dwordx2 v0, v[1:2], s[2:3]
.LBB1_361:                              ;   Parent Loop BB1_1 Depth=1
                                        ; =>  This Inner Loop Header: Depth=2
	global_load_dwordx2 v[1:2], v0, s[0:1] glc
	s_waitcnt vmcnt(0)
	v_cmp_ne_u64_e32 vcc, s[8:9], v[1:2]
	s_cbranch_vccnz .LBB1_361
; %bb.362:                              ;   in Loop: Header=BB1_1 Depth=1
	v_mov_b32_e32 v1, s8
	v_mov_b32_e32 v2, s9
	s_add_i32 s8, s4, 0xb5
	s_mov_b32 s9, s5
	global_store_dwordx2 v0, v[1:2], s[2:3]
.LBB1_363:                              ;   Parent Loop BB1_1 Depth=1
                                        ; =>  This Inner Loop Header: Depth=2
	global_load_dwordx2 v[1:2], v0, s[0:1] glc
	s_waitcnt vmcnt(0)
	v_cmp_ne_u64_e32 vcc, s[8:9], v[1:2]
	s_cbranch_vccnz .LBB1_363
; %bb.364:                              ;   in Loop: Header=BB1_1 Depth=1
	v_mov_b32_e32 v1, s8
	v_mov_b32_e32 v2, s9
	s_add_i32 s8, s4, 0xb6
	s_mov_b32 s9, s5
	global_store_dwordx2 v0, v[1:2], s[2:3]
.LBB1_365:                              ;   Parent Loop BB1_1 Depth=1
                                        ; =>  This Inner Loop Header: Depth=2
	global_load_dwordx2 v[1:2], v0, s[0:1] glc
	s_waitcnt vmcnt(0)
	v_cmp_ne_u64_e32 vcc, s[8:9], v[1:2]
	s_cbranch_vccnz .LBB1_365
; %bb.366:                              ;   in Loop: Header=BB1_1 Depth=1
	v_mov_b32_e32 v1, s8
	v_mov_b32_e32 v2, s9
	s_add_i32 s8, s4, 0xb7
	s_mov_b32 s9, s5
	global_store_dwordx2 v0, v[1:2], s[2:3]
.LBB1_367:                              ;   Parent Loop BB1_1 Depth=1
                                        ; =>  This Inner Loop Header: Depth=2
	global_load_dwordx2 v[1:2], v0, s[0:1] glc
	s_waitcnt vmcnt(0)
	v_cmp_ne_u64_e32 vcc, s[8:9], v[1:2]
	s_cbranch_vccnz .LBB1_367
; %bb.368:                              ;   in Loop: Header=BB1_1 Depth=1
	v_mov_b32_e32 v1, s8
	v_mov_b32_e32 v2, s9
	s_add_i32 s8, s4, 0xb8
	s_mov_b32 s9, s5
	global_store_dwordx2 v0, v[1:2], s[2:3]
.LBB1_369:                              ;   Parent Loop BB1_1 Depth=1
                                        ; =>  This Inner Loop Header: Depth=2
	global_load_dwordx2 v[1:2], v0, s[0:1] glc
	s_waitcnt vmcnt(0)
	v_cmp_ne_u64_e32 vcc, s[8:9], v[1:2]
	s_cbranch_vccnz .LBB1_369
; %bb.370:                              ;   in Loop: Header=BB1_1 Depth=1
	v_mov_b32_e32 v1, s8
	v_mov_b32_e32 v2, s9
	s_add_i32 s8, s4, 0xb9
	s_mov_b32 s9, s5
	global_store_dwordx2 v0, v[1:2], s[2:3]
.LBB1_371:                              ;   Parent Loop BB1_1 Depth=1
                                        ; =>  This Inner Loop Header: Depth=2
	global_load_dwordx2 v[1:2], v0, s[0:1] glc
	s_waitcnt vmcnt(0)
	v_cmp_ne_u64_e32 vcc, s[8:9], v[1:2]
	s_cbranch_vccnz .LBB1_371
; %bb.372:                              ;   in Loop: Header=BB1_1 Depth=1
	v_mov_b32_e32 v1, s8
	v_mov_b32_e32 v2, s9
	s_add_i32 s8, s4, 0xba
	s_mov_b32 s9, s5
	global_store_dwordx2 v0, v[1:2], s[2:3]
.LBB1_373:                              ;   Parent Loop BB1_1 Depth=1
                                        ; =>  This Inner Loop Header: Depth=2
	global_load_dwordx2 v[1:2], v0, s[0:1] glc
	s_waitcnt vmcnt(0)
	v_cmp_ne_u64_e32 vcc, s[8:9], v[1:2]
	s_cbranch_vccnz .LBB1_373
; %bb.374:                              ;   in Loop: Header=BB1_1 Depth=1
	v_mov_b32_e32 v1, s8
	v_mov_b32_e32 v2, s9
	s_add_i32 s8, s4, 0xbb
	s_mov_b32 s9, s5
	global_store_dwordx2 v0, v[1:2], s[2:3]
.LBB1_375:                              ;   Parent Loop BB1_1 Depth=1
                                        ; =>  This Inner Loop Header: Depth=2
	global_load_dwordx2 v[1:2], v0, s[0:1] glc
	s_waitcnt vmcnt(0)
	v_cmp_ne_u64_e32 vcc, s[8:9], v[1:2]
	s_cbranch_vccnz .LBB1_375
; %bb.376:                              ;   in Loop: Header=BB1_1 Depth=1
	v_mov_b32_e32 v1, s8
	v_mov_b32_e32 v2, s9
	s_add_i32 s8, s4, 0xbc
	s_mov_b32 s9, s5
	global_store_dwordx2 v0, v[1:2], s[2:3]
.LBB1_377:                              ;   Parent Loop BB1_1 Depth=1
                                        ; =>  This Inner Loop Header: Depth=2
	global_load_dwordx2 v[1:2], v0, s[0:1] glc
	s_waitcnt vmcnt(0)
	v_cmp_ne_u64_e32 vcc, s[8:9], v[1:2]
	s_cbranch_vccnz .LBB1_377
; %bb.378:                              ;   in Loop: Header=BB1_1 Depth=1
	v_mov_b32_e32 v1, s8
	v_mov_b32_e32 v2, s9
	s_add_i32 s8, s4, 0xbd
	s_mov_b32 s9, s5
	global_store_dwordx2 v0, v[1:2], s[2:3]
.LBB1_379:                              ;   Parent Loop BB1_1 Depth=1
                                        ; =>  This Inner Loop Header: Depth=2
	global_load_dwordx2 v[1:2], v0, s[0:1] glc
	s_waitcnt vmcnt(0)
	v_cmp_ne_u64_e32 vcc, s[8:9], v[1:2]
	s_cbranch_vccnz .LBB1_379
; %bb.380:                              ;   in Loop: Header=BB1_1 Depth=1
	v_mov_b32_e32 v1, s8
	v_mov_b32_e32 v2, s9
	s_add_i32 s8, s4, 0xbe
	s_mov_b32 s9, s5
	global_store_dwordx2 v0, v[1:2], s[2:3]
.LBB1_381:                              ;   Parent Loop BB1_1 Depth=1
                                        ; =>  This Inner Loop Header: Depth=2
	global_load_dwordx2 v[1:2], v0, s[0:1] glc
	s_waitcnt vmcnt(0)
	v_cmp_ne_u64_e32 vcc, s[8:9], v[1:2]
	s_cbranch_vccnz .LBB1_381
; %bb.382:                              ;   in Loop: Header=BB1_1 Depth=1
	v_mov_b32_e32 v1, s8
	v_mov_b32_e32 v2, s9
	s_add_i32 s8, s4, 0xbf
	s_mov_b32 s9, s5
	global_store_dwordx2 v0, v[1:2], s[2:3]
.LBB1_383:                              ;   Parent Loop BB1_1 Depth=1
                                        ; =>  This Inner Loop Header: Depth=2
	global_load_dwordx2 v[1:2], v0, s[0:1] glc
	s_waitcnt vmcnt(0)
	v_cmp_ne_u64_e32 vcc, s[8:9], v[1:2]
	s_cbranch_vccnz .LBB1_383
; %bb.384:                              ;   in Loop: Header=BB1_1 Depth=1
	v_mov_b32_e32 v1, s8
	v_mov_b32_e32 v2, s9
	s_add_i32 s8, s4, 0xc0
	s_mov_b32 s9, s5
	global_store_dwordx2 v0, v[1:2], s[2:3]
.LBB1_385:                              ;   Parent Loop BB1_1 Depth=1
                                        ; =>  This Inner Loop Header: Depth=2
	global_load_dwordx2 v[1:2], v0, s[0:1] glc
	s_waitcnt vmcnt(0)
	v_cmp_ne_u64_e32 vcc, s[8:9], v[1:2]
	s_cbranch_vccnz .LBB1_385
; %bb.386:                              ;   in Loop: Header=BB1_1 Depth=1
	v_mov_b32_e32 v1, s8
	v_mov_b32_e32 v2, s9
	s_add_i32 s8, s4, 0xc1
	s_mov_b32 s9, s5
	global_store_dwordx2 v0, v[1:2], s[2:3]
.LBB1_387:                              ;   Parent Loop BB1_1 Depth=1
                                        ; =>  This Inner Loop Header: Depth=2
	global_load_dwordx2 v[1:2], v0, s[0:1] glc
	s_waitcnt vmcnt(0)
	v_cmp_ne_u64_e32 vcc, s[8:9], v[1:2]
	s_cbranch_vccnz .LBB1_387
; %bb.388:                              ;   in Loop: Header=BB1_1 Depth=1
	v_mov_b32_e32 v1, s8
	v_mov_b32_e32 v2, s9
	s_add_i32 s8, s4, 0xc2
	s_mov_b32 s9, s5
	global_store_dwordx2 v0, v[1:2], s[2:3]
.LBB1_389:                              ;   Parent Loop BB1_1 Depth=1
                                        ; =>  This Inner Loop Header: Depth=2
	global_load_dwordx2 v[1:2], v0, s[0:1] glc
	s_waitcnt vmcnt(0)
	v_cmp_ne_u64_e32 vcc, s[8:9], v[1:2]
	s_cbranch_vccnz .LBB1_389
; %bb.390:                              ;   in Loop: Header=BB1_1 Depth=1
	v_mov_b32_e32 v1, s8
	v_mov_b32_e32 v2, s9
	s_add_i32 s8, s4, 0xc3
	s_mov_b32 s9, s5
	global_store_dwordx2 v0, v[1:2], s[2:3]
.LBB1_391:                              ;   Parent Loop BB1_1 Depth=1
                                        ; =>  This Inner Loop Header: Depth=2
	global_load_dwordx2 v[1:2], v0, s[0:1] glc
	s_waitcnt vmcnt(0)
	v_cmp_ne_u64_e32 vcc, s[8:9], v[1:2]
	s_cbranch_vccnz .LBB1_391
; %bb.392:                              ;   in Loop: Header=BB1_1 Depth=1
	v_mov_b32_e32 v1, s8
	v_mov_b32_e32 v2, s9
	s_add_i32 s8, s4, 0xc4
	s_mov_b32 s9, s5
	global_store_dwordx2 v0, v[1:2], s[2:3]
.LBB1_393:                              ;   Parent Loop BB1_1 Depth=1
                                        ; =>  This Inner Loop Header: Depth=2
	global_load_dwordx2 v[1:2], v0, s[0:1] glc
	s_waitcnt vmcnt(0)
	v_cmp_ne_u64_e32 vcc, s[8:9], v[1:2]
	s_cbranch_vccnz .LBB1_393
; %bb.394:                              ;   in Loop: Header=BB1_1 Depth=1
	v_mov_b32_e32 v1, s8
	v_mov_b32_e32 v2, s9
	s_add_i32 s8, s4, 0xc5
	s_mov_b32 s9, s5
	global_store_dwordx2 v0, v[1:2], s[2:3]
.LBB1_395:                              ;   Parent Loop BB1_1 Depth=1
                                        ; =>  This Inner Loop Header: Depth=2
	global_load_dwordx2 v[1:2], v0, s[0:1] glc
	s_waitcnt vmcnt(0)
	v_cmp_ne_u64_e32 vcc, s[8:9], v[1:2]
	s_cbranch_vccnz .LBB1_395
; %bb.396:                              ;   in Loop: Header=BB1_1 Depth=1
	v_mov_b32_e32 v1, s8
	v_mov_b32_e32 v2, s9
	s_add_i32 s8, s4, 0xc6
	s_mov_b32 s9, s5
	global_store_dwordx2 v0, v[1:2], s[2:3]
.LBB1_397:                              ;   Parent Loop BB1_1 Depth=1
                                        ; =>  This Inner Loop Header: Depth=2
	global_load_dwordx2 v[1:2], v0, s[0:1] glc
	s_waitcnt vmcnt(0)
	v_cmp_ne_u64_e32 vcc, s[8:9], v[1:2]
	s_cbranch_vccnz .LBB1_397
; %bb.398:                              ;   in Loop: Header=BB1_1 Depth=1
	v_mov_b32_e32 v1, s8
	v_mov_b32_e32 v2, s9
	s_add_i32 s8, s4, 0xc7
	s_mov_b32 s9, s5
	global_store_dwordx2 v0, v[1:2], s[2:3]
.LBB1_399:                              ;   Parent Loop BB1_1 Depth=1
                                        ; =>  This Inner Loop Header: Depth=2
	global_load_dwordx2 v[1:2], v0, s[0:1] glc
	s_waitcnt vmcnt(0)
	v_cmp_ne_u64_e32 vcc, s[8:9], v[1:2]
	s_cbranch_vccnz .LBB1_399
; %bb.400:                              ;   in Loop: Header=BB1_1 Depth=1
	v_mov_b32_e32 v1, s8
	v_mov_b32_e32 v2, s9
	s_add_i32 s8, s4, 0xc8
	s_mov_b32 s9, s5
	global_store_dwordx2 v0, v[1:2], s[2:3]
.LBB1_401:                              ;   Parent Loop BB1_1 Depth=1
                                        ; =>  This Inner Loop Header: Depth=2
	global_load_dwordx2 v[1:2], v0, s[0:1] glc
	s_waitcnt vmcnt(0)
	v_cmp_ne_u64_e32 vcc, s[8:9], v[1:2]
	s_cbranch_vccnz .LBB1_401
; %bb.402:                              ;   in Loop: Header=BB1_1 Depth=1
	v_mov_b32_e32 v1, s8
	v_mov_b32_e32 v2, s9
	s_add_i32 s8, s4, 0xc9
	s_mov_b32 s9, s5
	global_store_dwordx2 v0, v[1:2], s[2:3]
.LBB1_403:                              ;   Parent Loop BB1_1 Depth=1
                                        ; =>  This Inner Loop Header: Depth=2
	global_load_dwordx2 v[1:2], v0, s[0:1] glc
	s_waitcnt vmcnt(0)
	v_cmp_ne_u64_e32 vcc, s[8:9], v[1:2]
	s_cbranch_vccnz .LBB1_403
; %bb.404:                              ;   in Loop: Header=BB1_1 Depth=1
	v_mov_b32_e32 v1, s8
	v_mov_b32_e32 v2, s9
	s_add_i32 s8, s4, 0xca
	s_mov_b32 s9, s5
	global_store_dwordx2 v0, v[1:2], s[2:3]
.LBB1_405:                              ;   Parent Loop BB1_1 Depth=1
                                        ; =>  This Inner Loop Header: Depth=2
	global_load_dwordx2 v[1:2], v0, s[0:1] glc
	s_waitcnt vmcnt(0)
	v_cmp_ne_u64_e32 vcc, s[8:9], v[1:2]
	s_cbranch_vccnz .LBB1_405
; %bb.406:                              ;   in Loop: Header=BB1_1 Depth=1
	v_mov_b32_e32 v1, s8
	v_mov_b32_e32 v2, s9
	s_add_i32 s8, s4, 0xcb
	s_mov_b32 s9, s5
	global_store_dwordx2 v0, v[1:2], s[2:3]
.LBB1_407:                              ;   Parent Loop BB1_1 Depth=1
                                        ; =>  This Inner Loop Header: Depth=2
	global_load_dwordx2 v[1:2], v0, s[0:1] glc
	s_waitcnt vmcnt(0)
	v_cmp_ne_u64_e32 vcc, s[8:9], v[1:2]
	s_cbranch_vccnz .LBB1_407
; %bb.408:                              ;   in Loop: Header=BB1_1 Depth=1
	v_mov_b32_e32 v1, s8
	v_mov_b32_e32 v2, s9
	s_add_i32 s8, s4, 0xcc
	s_mov_b32 s9, s5
	global_store_dwordx2 v0, v[1:2], s[2:3]
.LBB1_409:                              ;   Parent Loop BB1_1 Depth=1
                                        ; =>  This Inner Loop Header: Depth=2
	global_load_dwordx2 v[1:2], v0, s[0:1] glc
	s_waitcnt vmcnt(0)
	v_cmp_ne_u64_e32 vcc, s[8:9], v[1:2]
	s_cbranch_vccnz .LBB1_409
; %bb.410:                              ;   in Loop: Header=BB1_1 Depth=1
	v_mov_b32_e32 v1, s8
	v_mov_b32_e32 v2, s9
	s_add_i32 s8, s4, 0xcd
	s_mov_b32 s9, s5
	global_store_dwordx2 v0, v[1:2], s[2:3]
.LBB1_411:                              ;   Parent Loop BB1_1 Depth=1
                                        ; =>  This Inner Loop Header: Depth=2
	global_load_dwordx2 v[1:2], v0, s[0:1] glc
	s_waitcnt vmcnt(0)
	v_cmp_ne_u64_e32 vcc, s[8:9], v[1:2]
	s_cbranch_vccnz .LBB1_411
; %bb.412:                              ;   in Loop: Header=BB1_1 Depth=1
	v_mov_b32_e32 v1, s8
	v_mov_b32_e32 v2, s9
	s_add_i32 s8, s4, 0xce
	s_mov_b32 s9, s5
	global_store_dwordx2 v0, v[1:2], s[2:3]
.LBB1_413:                              ;   Parent Loop BB1_1 Depth=1
                                        ; =>  This Inner Loop Header: Depth=2
	global_load_dwordx2 v[1:2], v0, s[0:1] glc
	s_waitcnt vmcnt(0)
	v_cmp_ne_u64_e32 vcc, s[8:9], v[1:2]
	s_cbranch_vccnz .LBB1_413
; %bb.414:                              ;   in Loop: Header=BB1_1 Depth=1
	v_mov_b32_e32 v1, s8
	v_mov_b32_e32 v2, s9
	s_add_i32 s8, s4, 0xcf
	s_mov_b32 s9, s5
	global_store_dwordx2 v0, v[1:2], s[2:3]
.LBB1_415:                              ;   Parent Loop BB1_1 Depth=1
                                        ; =>  This Inner Loop Header: Depth=2
	global_load_dwordx2 v[1:2], v0, s[0:1] glc
	s_waitcnt vmcnt(0)
	v_cmp_ne_u64_e32 vcc, s[8:9], v[1:2]
	s_cbranch_vccnz .LBB1_415
; %bb.416:                              ;   in Loop: Header=BB1_1 Depth=1
	v_mov_b32_e32 v1, s8
	v_mov_b32_e32 v2, s9
	s_add_i32 s8, s4, 0xd0
	s_mov_b32 s9, s5
	global_store_dwordx2 v0, v[1:2], s[2:3]
.LBB1_417:                              ;   Parent Loop BB1_1 Depth=1
                                        ; =>  This Inner Loop Header: Depth=2
	global_load_dwordx2 v[1:2], v0, s[0:1] glc
	s_waitcnt vmcnt(0)
	v_cmp_ne_u64_e32 vcc, s[8:9], v[1:2]
	s_cbranch_vccnz .LBB1_417
; %bb.418:                              ;   in Loop: Header=BB1_1 Depth=1
	v_mov_b32_e32 v1, s8
	v_mov_b32_e32 v2, s9
	s_add_i32 s8, s4, 0xd1
	s_mov_b32 s9, s5
	global_store_dwordx2 v0, v[1:2], s[2:3]
.LBB1_419:                              ;   Parent Loop BB1_1 Depth=1
                                        ; =>  This Inner Loop Header: Depth=2
	global_load_dwordx2 v[1:2], v0, s[0:1] glc
	s_waitcnt vmcnt(0)
	v_cmp_ne_u64_e32 vcc, s[8:9], v[1:2]
	s_cbranch_vccnz .LBB1_419
; %bb.420:                              ;   in Loop: Header=BB1_1 Depth=1
	v_mov_b32_e32 v1, s8
	v_mov_b32_e32 v2, s9
	s_add_i32 s8, s4, 0xd2
	s_mov_b32 s9, s5
	global_store_dwordx2 v0, v[1:2], s[2:3]
.LBB1_421:                              ;   Parent Loop BB1_1 Depth=1
                                        ; =>  This Inner Loop Header: Depth=2
	global_load_dwordx2 v[1:2], v0, s[0:1] glc
	s_waitcnt vmcnt(0)
	v_cmp_ne_u64_e32 vcc, s[8:9], v[1:2]
	s_cbranch_vccnz .LBB1_421
; %bb.422:                              ;   in Loop: Header=BB1_1 Depth=1
	v_mov_b32_e32 v1, s8
	v_mov_b32_e32 v2, s9
	s_add_i32 s8, s4, 0xd3
	s_mov_b32 s9, s5
	global_store_dwordx2 v0, v[1:2], s[2:3]
.LBB1_423:                              ;   Parent Loop BB1_1 Depth=1
                                        ; =>  This Inner Loop Header: Depth=2
	global_load_dwordx2 v[1:2], v0, s[0:1] glc
	s_waitcnt vmcnt(0)
	v_cmp_ne_u64_e32 vcc, s[8:9], v[1:2]
	s_cbranch_vccnz .LBB1_423
; %bb.424:                              ;   in Loop: Header=BB1_1 Depth=1
	v_mov_b32_e32 v1, s8
	v_mov_b32_e32 v2, s9
	s_add_i32 s8, s4, 0xd4
	s_mov_b32 s9, s5
	global_store_dwordx2 v0, v[1:2], s[2:3]
.LBB1_425:                              ;   Parent Loop BB1_1 Depth=1
                                        ; =>  This Inner Loop Header: Depth=2
	global_load_dwordx2 v[1:2], v0, s[0:1] glc
	s_waitcnt vmcnt(0)
	v_cmp_ne_u64_e32 vcc, s[8:9], v[1:2]
	s_cbranch_vccnz .LBB1_425
; %bb.426:                              ;   in Loop: Header=BB1_1 Depth=1
	v_mov_b32_e32 v1, s8
	v_mov_b32_e32 v2, s9
	s_add_i32 s8, s4, 0xd5
	s_mov_b32 s9, s5
	global_store_dwordx2 v0, v[1:2], s[2:3]
.LBB1_427:                              ;   Parent Loop BB1_1 Depth=1
                                        ; =>  This Inner Loop Header: Depth=2
	global_load_dwordx2 v[1:2], v0, s[0:1] glc
	s_waitcnt vmcnt(0)
	v_cmp_ne_u64_e32 vcc, s[8:9], v[1:2]
	s_cbranch_vccnz .LBB1_427
; %bb.428:                              ;   in Loop: Header=BB1_1 Depth=1
	v_mov_b32_e32 v1, s8
	v_mov_b32_e32 v2, s9
	s_add_i32 s8, s4, 0xd6
	s_mov_b32 s9, s5
	global_store_dwordx2 v0, v[1:2], s[2:3]
.LBB1_429:                              ;   Parent Loop BB1_1 Depth=1
                                        ; =>  This Inner Loop Header: Depth=2
	global_load_dwordx2 v[1:2], v0, s[0:1] glc
	s_waitcnt vmcnt(0)
	v_cmp_ne_u64_e32 vcc, s[8:9], v[1:2]
	s_cbranch_vccnz .LBB1_429
; %bb.430:                              ;   in Loop: Header=BB1_1 Depth=1
	v_mov_b32_e32 v1, s8
	v_mov_b32_e32 v2, s9
	s_add_i32 s8, s4, 0xd7
	s_mov_b32 s9, s5
	global_store_dwordx2 v0, v[1:2], s[2:3]
.LBB1_431:                              ;   Parent Loop BB1_1 Depth=1
                                        ; =>  This Inner Loop Header: Depth=2
	global_load_dwordx2 v[1:2], v0, s[0:1] glc
	s_waitcnt vmcnt(0)
	v_cmp_ne_u64_e32 vcc, s[8:9], v[1:2]
	s_cbranch_vccnz .LBB1_431
; %bb.432:                              ;   in Loop: Header=BB1_1 Depth=1
	v_mov_b32_e32 v1, s8
	v_mov_b32_e32 v2, s9
	s_add_i32 s8, s4, 0xd8
	s_mov_b32 s9, s5
	global_store_dwordx2 v0, v[1:2], s[2:3]
.LBB1_433:                              ;   Parent Loop BB1_1 Depth=1
                                        ; =>  This Inner Loop Header: Depth=2
	global_load_dwordx2 v[1:2], v0, s[0:1] glc
	s_waitcnt vmcnt(0)
	v_cmp_ne_u64_e32 vcc, s[8:9], v[1:2]
	s_cbranch_vccnz .LBB1_433
; %bb.434:                              ;   in Loop: Header=BB1_1 Depth=1
	v_mov_b32_e32 v1, s8
	v_mov_b32_e32 v2, s9
	s_add_i32 s8, s4, 0xd9
	s_mov_b32 s9, s5
	global_store_dwordx2 v0, v[1:2], s[2:3]
.LBB1_435:                              ;   Parent Loop BB1_1 Depth=1
                                        ; =>  This Inner Loop Header: Depth=2
	global_load_dwordx2 v[1:2], v0, s[0:1] glc
	s_waitcnt vmcnt(0)
	v_cmp_ne_u64_e32 vcc, s[8:9], v[1:2]
	s_cbranch_vccnz .LBB1_435
; %bb.436:                              ;   in Loop: Header=BB1_1 Depth=1
	v_mov_b32_e32 v1, s8
	v_mov_b32_e32 v2, s9
	s_add_i32 s8, s4, 0xda
	s_mov_b32 s9, s5
	global_store_dwordx2 v0, v[1:2], s[2:3]
.LBB1_437:                              ;   Parent Loop BB1_1 Depth=1
                                        ; =>  This Inner Loop Header: Depth=2
	global_load_dwordx2 v[1:2], v0, s[0:1] glc
	s_waitcnt vmcnt(0)
	v_cmp_ne_u64_e32 vcc, s[8:9], v[1:2]
	s_cbranch_vccnz .LBB1_437
; %bb.438:                              ;   in Loop: Header=BB1_1 Depth=1
	v_mov_b32_e32 v1, s8
	v_mov_b32_e32 v2, s9
	s_add_i32 s8, s4, 0xdb
	s_mov_b32 s9, s5
	global_store_dwordx2 v0, v[1:2], s[2:3]
.LBB1_439:                              ;   Parent Loop BB1_1 Depth=1
                                        ; =>  This Inner Loop Header: Depth=2
	global_load_dwordx2 v[1:2], v0, s[0:1] glc
	s_waitcnt vmcnt(0)
	v_cmp_ne_u64_e32 vcc, s[8:9], v[1:2]
	s_cbranch_vccnz .LBB1_439
; %bb.440:                              ;   in Loop: Header=BB1_1 Depth=1
	v_mov_b32_e32 v1, s8
	v_mov_b32_e32 v2, s9
	s_add_i32 s8, s4, 0xdc
	s_mov_b32 s9, s5
	global_store_dwordx2 v0, v[1:2], s[2:3]
.LBB1_441:                              ;   Parent Loop BB1_1 Depth=1
                                        ; =>  This Inner Loop Header: Depth=2
	global_load_dwordx2 v[1:2], v0, s[0:1] glc
	s_waitcnt vmcnt(0)
	v_cmp_ne_u64_e32 vcc, s[8:9], v[1:2]
	s_cbranch_vccnz .LBB1_441
; %bb.442:                              ;   in Loop: Header=BB1_1 Depth=1
	v_mov_b32_e32 v1, s8
	v_mov_b32_e32 v2, s9
	s_add_i32 s8, s4, 0xdd
	s_mov_b32 s9, s5
	global_store_dwordx2 v0, v[1:2], s[2:3]
.LBB1_443:                              ;   Parent Loop BB1_1 Depth=1
                                        ; =>  This Inner Loop Header: Depth=2
	global_load_dwordx2 v[1:2], v0, s[0:1] glc
	s_waitcnt vmcnt(0)
	v_cmp_ne_u64_e32 vcc, s[8:9], v[1:2]
	s_cbranch_vccnz .LBB1_443
; %bb.444:                              ;   in Loop: Header=BB1_1 Depth=1
	v_mov_b32_e32 v1, s8
	v_mov_b32_e32 v2, s9
	s_add_i32 s8, s4, 0xde
	s_mov_b32 s9, s5
	global_store_dwordx2 v0, v[1:2], s[2:3]
.LBB1_445:                              ;   Parent Loop BB1_1 Depth=1
                                        ; =>  This Inner Loop Header: Depth=2
	global_load_dwordx2 v[1:2], v0, s[0:1] glc
	s_waitcnt vmcnt(0)
	v_cmp_ne_u64_e32 vcc, s[8:9], v[1:2]
	s_cbranch_vccnz .LBB1_445
; %bb.446:                              ;   in Loop: Header=BB1_1 Depth=1
	v_mov_b32_e32 v1, s8
	v_mov_b32_e32 v2, s9
	s_add_i32 s8, s4, 0xdf
	s_mov_b32 s9, s5
	global_store_dwordx2 v0, v[1:2], s[2:3]
.LBB1_447:                              ;   Parent Loop BB1_1 Depth=1
                                        ; =>  This Inner Loop Header: Depth=2
	global_load_dwordx2 v[1:2], v0, s[0:1] glc
	s_waitcnt vmcnt(0)
	v_cmp_ne_u64_e32 vcc, s[8:9], v[1:2]
	s_cbranch_vccnz .LBB1_447
; %bb.448:                              ;   in Loop: Header=BB1_1 Depth=1
	v_mov_b32_e32 v1, s8
	v_mov_b32_e32 v2, s9
	s_add_i32 s8, s4, 0xe0
	s_mov_b32 s9, s5
	global_store_dwordx2 v0, v[1:2], s[2:3]
.LBB1_449:                              ;   Parent Loop BB1_1 Depth=1
                                        ; =>  This Inner Loop Header: Depth=2
	global_load_dwordx2 v[1:2], v0, s[0:1] glc
	s_waitcnt vmcnt(0)
	v_cmp_ne_u64_e32 vcc, s[8:9], v[1:2]
	s_cbranch_vccnz .LBB1_449
; %bb.450:                              ;   in Loop: Header=BB1_1 Depth=1
	v_mov_b32_e32 v1, s8
	v_mov_b32_e32 v2, s9
	s_add_i32 s8, s4, 0xe1
	s_mov_b32 s9, s5
	global_store_dwordx2 v0, v[1:2], s[2:3]
.LBB1_451:                              ;   Parent Loop BB1_1 Depth=1
                                        ; =>  This Inner Loop Header: Depth=2
	global_load_dwordx2 v[1:2], v0, s[0:1] glc
	s_waitcnt vmcnt(0)
	v_cmp_ne_u64_e32 vcc, s[8:9], v[1:2]
	s_cbranch_vccnz .LBB1_451
; %bb.452:                              ;   in Loop: Header=BB1_1 Depth=1
	v_mov_b32_e32 v1, s8
	v_mov_b32_e32 v2, s9
	s_add_i32 s8, s4, 0xe2
	s_mov_b32 s9, s5
	global_store_dwordx2 v0, v[1:2], s[2:3]
.LBB1_453:                              ;   Parent Loop BB1_1 Depth=1
                                        ; =>  This Inner Loop Header: Depth=2
	global_load_dwordx2 v[1:2], v0, s[0:1] glc
	s_waitcnt vmcnt(0)
	v_cmp_ne_u64_e32 vcc, s[8:9], v[1:2]
	s_cbranch_vccnz .LBB1_453
; %bb.454:                              ;   in Loop: Header=BB1_1 Depth=1
	v_mov_b32_e32 v1, s8
	v_mov_b32_e32 v2, s9
	s_add_i32 s8, s4, 0xe3
	s_mov_b32 s9, s5
	global_store_dwordx2 v0, v[1:2], s[2:3]
.LBB1_455:                              ;   Parent Loop BB1_1 Depth=1
                                        ; =>  This Inner Loop Header: Depth=2
	global_load_dwordx2 v[1:2], v0, s[0:1] glc
	s_waitcnt vmcnt(0)
	v_cmp_ne_u64_e32 vcc, s[8:9], v[1:2]
	s_cbranch_vccnz .LBB1_455
; %bb.456:                              ;   in Loop: Header=BB1_1 Depth=1
	v_mov_b32_e32 v1, s8
	v_mov_b32_e32 v2, s9
	s_add_i32 s8, s4, 0xe4
	s_mov_b32 s9, s5
	global_store_dwordx2 v0, v[1:2], s[2:3]
.LBB1_457:                              ;   Parent Loop BB1_1 Depth=1
                                        ; =>  This Inner Loop Header: Depth=2
	global_load_dwordx2 v[1:2], v0, s[0:1] glc
	s_waitcnt vmcnt(0)
	v_cmp_ne_u64_e32 vcc, s[8:9], v[1:2]
	s_cbranch_vccnz .LBB1_457
; %bb.458:                              ;   in Loop: Header=BB1_1 Depth=1
	v_mov_b32_e32 v1, s8
	v_mov_b32_e32 v2, s9
	s_add_i32 s8, s4, 0xe5
	s_mov_b32 s9, s5
	global_store_dwordx2 v0, v[1:2], s[2:3]
.LBB1_459:                              ;   Parent Loop BB1_1 Depth=1
                                        ; =>  This Inner Loop Header: Depth=2
	global_load_dwordx2 v[1:2], v0, s[0:1] glc
	s_waitcnt vmcnt(0)
	v_cmp_ne_u64_e32 vcc, s[8:9], v[1:2]
	s_cbranch_vccnz .LBB1_459
; %bb.460:                              ;   in Loop: Header=BB1_1 Depth=1
	v_mov_b32_e32 v1, s8
	v_mov_b32_e32 v2, s9
	s_add_i32 s8, s4, 0xe6
	s_mov_b32 s9, s5
	global_store_dwordx2 v0, v[1:2], s[2:3]
.LBB1_461:                              ;   Parent Loop BB1_1 Depth=1
                                        ; =>  This Inner Loop Header: Depth=2
	global_load_dwordx2 v[1:2], v0, s[0:1] glc
	s_waitcnt vmcnt(0)
	v_cmp_ne_u64_e32 vcc, s[8:9], v[1:2]
	s_cbranch_vccnz .LBB1_461
; %bb.462:                              ;   in Loop: Header=BB1_1 Depth=1
	v_mov_b32_e32 v1, s8
	v_mov_b32_e32 v2, s9
	s_add_i32 s8, s4, 0xe7
	s_mov_b32 s9, s5
	global_store_dwordx2 v0, v[1:2], s[2:3]
.LBB1_463:                              ;   Parent Loop BB1_1 Depth=1
                                        ; =>  This Inner Loop Header: Depth=2
	global_load_dwordx2 v[1:2], v0, s[0:1] glc
	s_waitcnt vmcnt(0)
	v_cmp_ne_u64_e32 vcc, s[8:9], v[1:2]
	s_cbranch_vccnz .LBB1_463
; %bb.464:                              ;   in Loop: Header=BB1_1 Depth=1
	v_mov_b32_e32 v1, s8
	v_mov_b32_e32 v2, s9
	s_add_i32 s8, s4, 0xe8
	s_mov_b32 s9, s5
	global_store_dwordx2 v0, v[1:2], s[2:3]
.LBB1_465:                              ;   Parent Loop BB1_1 Depth=1
                                        ; =>  This Inner Loop Header: Depth=2
	global_load_dwordx2 v[1:2], v0, s[0:1] glc
	s_waitcnt vmcnt(0)
	v_cmp_ne_u64_e32 vcc, s[8:9], v[1:2]
	s_cbranch_vccnz .LBB1_465
; %bb.466:                              ;   in Loop: Header=BB1_1 Depth=1
	v_mov_b32_e32 v1, s8
	v_mov_b32_e32 v2, s9
	s_add_i32 s8, s4, 0xe9
	s_mov_b32 s9, s5
	global_store_dwordx2 v0, v[1:2], s[2:3]
.LBB1_467:                              ;   Parent Loop BB1_1 Depth=1
                                        ; =>  This Inner Loop Header: Depth=2
	global_load_dwordx2 v[1:2], v0, s[0:1] glc
	s_waitcnt vmcnt(0)
	v_cmp_ne_u64_e32 vcc, s[8:9], v[1:2]
	s_cbranch_vccnz .LBB1_467
; %bb.468:                              ;   in Loop: Header=BB1_1 Depth=1
	v_mov_b32_e32 v1, s8
	v_mov_b32_e32 v2, s9
	s_add_i32 s8, s4, 0xea
	s_mov_b32 s9, s5
	global_store_dwordx2 v0, v[1:2], s[2:3]
.LBB1_469:                              ;   Parent Loop BB1_1 Depth=1
                                        ; =>  This Inner Loop Header: Depth=2
	global_load_dwordx2 v[1:2], v0, s[0:1] glc
	s_waitcnt vmcnt(0)
	v_cmp_ne_u64_e32 vcc, s[8:9], v[1:2]
	s_cbranch_vccnz .LBB1_469
; %bb.470:                              ;   in Loop: Header=BB1_1 Depth=1
	v_mov_b32_e32 v1, s8
	v_mov_b32_e32 v2, s9
	s_add_i32 s8, s4, 0xeb
	s_mov_b32 s9, s5
	global_store_dwordx2 v0, v[1:2], s[2:3]
.LBB1_471:                              ;   Parent Loop BB1_1 Depth=1
                                        ; =>  This Inner Loop Header: Depth=2
	global_load_dwordx2 v[1:2], v0, s[0:1] glc
	s_waitcnt vmcnt(0)
	v_cmp_ne_u64_e32 vcc, s[8:9], v[1:2]
	s_cbranch_vccnz .LBB1_471
; %bb.472:                              ;   in Loop: Header=BB1_1 Depth=1
	v_mov_b32_e32 v1, s8
	v_mov_b32_e32 v2, s9
	s_add_i32 s8, s4, 0xec
	s_mov_b32 s9, s5
	global_store_dwordx2 v0, v[1:2], s[2:3]
.LBB1_473:                              ;   Parent Loop BB1_1 Depth=1
                                        ; =>  This Inner Loop Header: Depth=2
	global_load_dwordx2 v[1:2], v0, s[0:1] glc
	s_waitcnt vmcnt(0)
	v_cmp_ne_u64_e32 vcc, s[8:9], v[1:2]
	s_cbranch_vccnz .LBB1_473
; %bb.474:                              ;   in Loop: Header=BB1_1 Depth=1
	v_mov_b32_e32 v1, s8
	v_mov_b32_e32 v2, s9
	s_add_i32 s8, s4, 0xed
	s_mov_b32 s9, s5
	global_store_dwordx2 v0, v[1:2], s[2:3]
.LBB1_475:                              ;   Parent Loop BB1_1 Depth=1
                                        ; =>  This Inner Loop Header: Depth=2
	global_load_dwordx2 v[1:2], v0, s[0:1] glc
	s_waitcnt vmcnt(0)
	v_cmp_ne_u64_e32 vcc, s[8:9], v[1:2]
	s_cbranch_vccnz .LBB1_475
; %bb.476:                              ;   in Loop: Header=BB1_1 Depth=1
	v_mov_b32_e32 v1, s8
	v_mov_b32_e32 v2, s9
	s_add_i32 s8, s4, 0xee
	s_mov_b32 s9, s5
	global_store_dwordx2 v0, v[1:2], s[2:3]
.LBB1_477:                              ;   Parent Loop BB1_1 Depth=1
                                        ; =>  This Inner Loop Header: Depth=2
	global_load_dwordx2 v[1:2], v0, s[0:1] glc
	s_waitcnt vmcnt(0)
	v_cmp_ne_u64_e32 vcc, s[8:9], v[1:2]
	s_cbranch_vccnz .LBB1_477
; %bb.478:                              ;   in Loop: Header=BB1_1 Depth=1
	v_mov_b32_e32 v1, s8
	v_mov_b32_e32 v2, s9
	s_add_i32 s8, s4, 0xef
	s_mov_b32 s9, s5
	global_store_dwordx2 v0, v[1:2], s[2:3]
.LBB1_479:                              ;   Parent Loop BB1_1 Depth=1
                                        ; =>  This Inner Loop Header: Depth=2
	global_load_dwordx2 v[1:2], v0, s[0:1] glc
	s_waitcnt vmcnt(0)
	v_cmp_ne_u64_e32 vcc, s[8:9], v[1:2]
	s_cbranch_vccnz .LBB1_479
; %bb.480:                              ;   in Loop: Header=BB1_1 Depth=1
	v_mov_b32_e32 v1, s8
	v_mov_b32_e32 v2, s9
	s_add_i32 s8, s4, 0xf0
	s_mov_b32 s9, s5
	global_store_dwordx2 v0, v[1:2], s[2:3]
.LBB1_481:                              ;   Parent Loop BB1_1 Depth=1
                                        ; =>  This Inner Loop Header: Depth=2
	global_load_dwordx2 v[1:2], v0, s[0:1] glc
	s_waitcnt vmcnt(0)
	v_cmp_ne_u64_e32 vcc, s[8:9], v[1:2]
	s_cbranch_vccnz .LBB1_481
; %bb.482:                              ;   in Loop: Header=BB1_1 Depth=1
	v_mov_b32_e32 v1, s8
	v_mov_b32_e32 v2, s9
	s_add_i32 s8, s4, 0xf1
	s_mov_b32 s9, s5
	global_store_dwordx2 v0, v[1:2], s[2:3]
.LBB1_483:                              ;   Parent Loop BB1_1 Depth=1
                                        ; =>  This Inner Loop Header: Depth=2
	global_load_dwordx2 v[1:2], v0, s[0:1] glc
	s_waitcnt vmcnt(0)
	v_cmp_ne_u64_e32 vcc, s[8:9], v[1:2]
	s_cbranch_vccnz .LBB1_483
; %bb.484:                              ;   in Loop: Header=BB1_1 Depth=1
	v_mov_b32_e32 v1, s8
	v_mov_b32_e32 v2, s9
	s_add_i32 s8, s4, 0xf2
	s_mov_b32 s9, s5
	global_store_dwordx2 v0, v[1:2], s[2:3]
.LBB1_485:                              ;   Parent Loop BB1_1 Depth=1
                                        ; =>  This Inner Loop Header: Depth=2
	global_load_dwordx2 v[1:2], v0, s[0:1] glc
	s_waitcnt vmcnt(0)
	v_cmp_ne_u64_e32 vcc, s[8:9], v[1:2]
	s_cbranch_vccnz .LBB1_485
; %bb.486:                              ;   in Loop: Header=BB1_1 Depth=1
	v_mov_b32_e32 v1, s8
	v_mov_b32_e32 v2, s9
	s_add_i32 s8, s4, 0xf3
	s_mov_b32 s9, s5
	global_store_dwordx2 v0, v[1:2], s[2:3]
.LBB1_487:                              ;   Parent Loop BB1_1 Depth=1
                                        ; =>  This Inner Loop Header: Depth=2
	global_load_dwordx2 v[1:2], v0, s[0:1] glc
	s_waitcnt vmcnt(0)
	v_cmp_ne_u64_e32 vcc, s[8:9], v[1:2]
	s_cbranch_vccnz .LBB1_487
; %bb.488:                              ;   in Loop: Header=BB1_1 Depth=1
	v_mov_b32_e32 v1, s8
	v_mov_b32_e32 v2, s9
	s_add_i32 s8, s4, 0xf4
	s_mov_b32 s9, s5
	global_store_dwordx2 v0, v[1:2], s[2:3]
.LBB1_489:                              ;   Parent Loop BB1_1 Depth=1
                                        ; =>  This Inner Loop Header: Depth=2
	global_load_dwordx2 v[1:2], v0, s[0:1] glc
	s_waitcnt vmcnt(0)
	v_cmp_ne_u64_e32 vcc, s[8:9], v[1:2]
	s_cbranch_vccnz .LBB1_489
; %bb.490:                              ;   in Loop: Header=BB1_1 Depth=1
	v_mov_b32_e32 v1, s8
	v_mov_b32_e32 v2, s9
	s_add_i32 s8, s4, 0xf5
	s_mov_b32 s9, s5
	global_store_dwordx2 v0, v[1:2], s[2:3]
.LBB1_491:                              ;   Parent Loop BB1_1 Depth=1
                                        ; =>  This Inner Loop Header: Depth=2
	global_load_dwordx2 v[1:2], v0, s[0:1] glc
	s_waitcnt vmcnt(0)
	v_cmp_ne_u64_e32 vcc, s[8:9], v[1:2]
	s_cbranch_vccnz .LBB1_491
; %bb.492:                              ;   in Loop: Header=BB1_1 Depth=1
	v_mov_b32_e32 v1, s8
	v_mov_b32_e32 v2, s9
	s_add_i32 s8, s4, 0xf6
	s_mov_b32 s9, s5
	global_store_dwordx2 v0, v[1:2], s[2:3]
.LBB1_493:                              ;   Parent Loop BB1_1 Depth=1
                                        ; =>  This Inner Loop Header: Depth=2
	global_load_dwordx2 v[1:2], v0, s[0:1] glc
	s_waitcnt vmcnt(0)
	v_cmp_ne_u64_e32 vcc, s[8:9], v[1:2]
	s_cbranch_vccnz .LBB1_493
; %bb.494:                              ;   in Loop: Header=BB1_1 Depth=1
	v_mov_b32_e32 v1, s8
	v_mov_b32_e32 v2, s9
	s_add_i32 s8, s4, 0xf7
	s_mov_b32 s9, s5
	global_store_dwordx2 v0, v[1:2], s[2:3]
.LBB1_495:                              ;   Parent Loop BB1_1 Depth=1
                                        ; =>  This Inner Loop Header: Depth=2
	global_load_dwordx2 v[1:2], v0, s[0:1] glc
	s_waitcnt vmcnt(0)
	v_cmp_ne_u64_e32 vcc, s[8:9], v[1:2]
	s_cbranch_vccnz .LBB1_495
; %bb.496:                              ;   in Loop: Header=BB1_1 Depth=1
	v_mov_b32_e32 v1, s8
	v_mov_b32_e32 v2, s9
	s_add_i32 s8, s4, 0xf8
	s_mov_b32 s9, s5
	global_store_dwordx2 v0, v[1:2], s[2:3]
.LBB1_497:                              ;   Parent Loop BB1_1 Depth=1
                                        ; =>  This Inner Loop Header: Depth=2
	global_load_dwordx2 v[1:2], v0, s[0:1] glc
	s_waitcnt vmcnt(0)
	v_cmp_ne_u64_e32 vcc, s[8:9], v[1:2]
	s_cbranch_vccnz .LBB1_497
; %bb.498:                              ;   in Loop: Header=BB1_1 Depth=1
	v_mov_b32_e32 v1, s8
	v_mov_b32_e32 v2, s9
	s_add_i32 s8, s4, 0xf9
	s_mov_b32 s9, s5
	global_store_dwordx2 v0, v[1:2], s[2:3]
.LBB1_499:                              ;   Parent Loop BB1_1 Depth=1
                                        ; =>  This Inner Loop Header: Depth=2
	global_load_dwordx2 v[1:2], v0, s[0:1] glc
	s_waitcnt vmcnt(0)
	v_cmp_ne_u64_e32 vcc, s[8:9], v[1:2]
	s_cbranch_vccnz .LBB1_499
; %bb.500:                              ;   in Loop: Header=BB1_1 Depth=1
	v_mov_b32_e32 v1, s8
	v_mov_b32_e32 v2, s9
	s_add_i32 s8, s4, 0xfa
	s_mov_b32 s9, s5
	global_store_dwordx2 v0, v[1:2], s[2:3]
.LBB1_501:                              ;   Parent Loop BB1_1 Depth=1
                                        ; =>  This Inner Loop Header: Depth=2
	global_load_dwordx2 v[1:2], v0, s[0:1] glc
	s_waitcnt vmcnt(0)
	v_cmp_ne_u64_e32 vcc, s[8:9], v[1:2]
	s_cbranch_vccnz .LBB1_501
; %bb.502:                              ;   in Loop: Header=BB1_1 Depth=1
	v_mov_b32_e32 v1, s8
	v_mov_b32_e32 v2, s9
	s_add_i32 s8, s4, 0xfb
	s_mov_b32 s9, s5
	global_store_dwordx2 v0, v[1:2], s[2:3]
.LBB1_503:                              ;   Parent Loop BB1_1 Depth=1
                                        ; =>  This Inner Loop Header: Depth=2
	global_load_dwordx2 v[1:2], v0, s[0:1] glc
	s_waitcnt vmcnt(0)
	v_cmp_ne_u64_e32 vcc, s[8:9], v[1:2]
	s_cbranch_vccnz .LBB1_503
; %bb.504:                              ;   in Loop: Header=BB1_1 Depth=1
	v_mov_b32_e32 v1, s8
	v_mov_b32_e32 v2, s9
	s_add_i32 s8, s4, 0xfc
	s_mov_b32 s9, s5
	global_store_dwordx2 v0, v[1:2], s[2:3]
.LBB1_505:                              ;   Parent Loop BB1_1 Depth=1
                                        ; =>  This Inner Loop Header: Depth=2
	global_load_dwordx2 v[1:2], v0, s[0:1] glc
	s_waitcnt vmcnt(0)
	v_cmp_ne_u64_e32 vcc, s[8:9], v[1:2]
	s_cbranch_vccnz .LBB1_505
; %bb.506:                              ;   in Loop: Header=BB1_1 Depth=1
	v_mov_b32_e32 v1, s8
	v_mov_b32_e32 v2, s9
	s_add_i32 s8, s4, 0xfd
	s_mov_b32 s9, s5
	global_store_dwordx2 v0, v[1:2], s[2:3]
.LBB1_507:                              ;   Parent Loop BB1_1 Depth=1
                                        ; =>  This Inner Loop Header: Depth=2
	global_load_dwordx2 v[1:2], v0, s[0:1] glc
	s_waitcnt vmcnt(0)
	v_cmp_ne_u64_e32 vcc, s[8:9], v[1:2]
	s_cbranch_vccnz .LBB1_507
; %bb.508:                              ;   in Loop: Header=BB1_1 Depth=1
	v_mov_b32_e32 v1, s8
	v_mov_b32_e32 v2, s9
	s_add_i32 s8, s4, 0xfe
	s_mov_b32 s9, s5
	global_store_dwordx2 v0, v[1:2], s[2:3]
.LBB1_509:                              ;   Parent Loop BB1_1 Depth=1
                                        ; =>  This Inner Loop Header: Depth=2
	global_load_dwordx2 v[1:2], v0, s[0:1] glc
	s_waitcnt vmcnt(0)
	v_cmp_ne_u64_e32 vcc, s[8:9], v[1:2]
	s_cbranch_vccnz .LBB1_509
; %bb.510:                              ;   in Loop: Header=BB1_1 Depth=1
	v_mov_b32_e32 v1, s8
	v_mov_b32_e32 v2, s9
	s_add_i32 s8, s4, 0xff
	s_mov_b32 s9, s5
	global_store_dwordx2 v0, v[1:2], s[2:3]
.LBB1_511:                              ;   Parent Loop BB1_1 Depth=1
                                        ; =>  This Inner Loop Header: Depth=2
	global_load_dwordx2 v[1:2], v0, s[0:1] glc
	s_waitcnt vmcnt(0)
	v_cmp_ne_u64_e32 vcc, s[8:9], v[1:2]
	s_cbranch_vccnz .LBB1_511
; %bb.512:                              ;   in Loop: Header=BB1_1 Depth=1
	v_mov_b32_e32 v1, s8
	v_mov_b32_e32 v2, s9
	s_add_i32 s8, s4, 0x100
	s_mov_b32 s9, s5
	global_store_dwordx2 v0, v[1:2], s[2:3]
.LBB1_513:                              ;   Parent Loop BB1_1 Depth=1
                                        ; =>  This Inner Loop Header: Depth=2
	global_load_dwordx2 v[1:2], v0, s[0:1] glc
	s_waitcnt vmcnt(0)
	v_cmp_ne_u64_e32 vcc, s[8:9], v[1:2]
	s_cbranch_vccnz .LBB1_513
; %bb.514:                              ;   in Loop: Header=BB1_1 Depth=1
	v_mov_b32_e32 v1, s8
	v_mov_b32_e32 v2, s9
	s_add_i32 s8, s4, 0x101
	s_mov_b32 s9, s5
	global_store_dwordx2 v0, v[1:2], s[2:3]
.LBB1_515:                              ;   Parent Loop BB1_1 Depth=1
                                        ; =>  This Inner Loop Header: Depth=2
	global_load_dwordx2 v[1:2], v0, s[0:1] glc
	s_waitcnt vmcnt(0)
	v_cmp_ne_u64_e32 vcc, s[8:9], v[1:2]
	s_cbranch_vccnz .LBB1_515
; %bb.516:                              ;   in Loop: Header=BB1_1 Depth=1
	v_mov_b32_e32 v1, s8
	v_mov_b32_e32 v2, s9
	s_add_i32 s8, s4, 0x102
	s_mov_b32 s9, s5
	global_store_dwordx2 v0, v[1:2], s[2:3]
.LBB1_517:                              ;   Parent Loop BB1_1 Depth=1
                                        ; =>  This Inner Loop Header: Depth=2
	global_load_dwordx2 v[1:2], v0, s[0:1] glc
	s_waitcnt vmcnt(0)
	v_cmp_ne_u64_e32 vcc, s[8:9], v[1:2]
	s_cbranch_vccnz .LBB1_517
; %bb.518:                              ;   in Loop: Header=BB1_1 Depth=1
	v_mov_b32_e32 v1, s8
	v_mov_b32_e32 v2, s9
	s_add_i32 s8, s4, 0x103
	s_mov_b32 s9, s5
	global_store_dwordx2 v0, v[1:2], s[2:3]
.LBB1_519:                              ;   Parent Loop BB1_1 Depth=1
                                        ; =>  This Inner Loop Header: Depth=2
	global_load_dwordx2 v[1:2], v0, s[0:1] glc
	s_waitcnt vmcnt(0)
	v_cmp_ne_u64_e32 vcc, s[8:9], v[1:2]
	s_cbranch_vccnz .LBB1_519
; %bb.520:                              ;   in Loop: Header=BB1_1 Depth=1
	v_mov_b32_e32 v1, s8
	v_mov_b32_e32 v2, s9
	s_add_i32 s8, s4, 0x104
	s_mov_b32 s9, s5
	global_store_dwordx2 v0, v[1:2], s[2:3]
.LBB1_521:                              ;   Parent Loop BB1_1 Depth=1
                                        ; =>  This Inner Loop Header: Depth=2
	global_load_dwordx2 v[1:2], v0, s[0:1] glc
	s_waitcnt vmcnt(0)
	v_cmp_ne_u64_e32 vcc, s[8:9], v[1:2]
	s_cbranch_vccnz .LBB1_521
; %bb.522:                              ;   in Loop: Header=BB1_1 Depth=1
	v_mov_b32_e32 v1, s8
	v_mov_b32_e32 v2, s9
	s_add_i32 s8, s4, 0x105
	s_mov_b32 s9, s5
	global_store_dwordx2 v0, v[1:2], s[2:3]
.LBB1_523:                              ;   Parent Loop BB1_1 Depth=1
                                        ; =>  This Inner Loop Header: Depth=2
	global_load_dwordx2 v[1:2], v0, s[0:1] glc
	s_waitcnt vmcnt(0)
	v_cmp_ne_u64_e32 vcc, s[8:9], v[1:2]
	s_cbranch_vccnz .LBB1_523
; %bb.524:                              ;   in Loop: Header=BB1_1 Depth=1
	v_mov_b32_e32 v1, s8
	v_mov_b32_e32 v2, s9
	s_add_i32 s8, s4, 0x106
	s_mov_b32 s9, s5
	global_store_dwordx2 v0, v[1:2], s[2:3]
.LBB1_525:                              ;   Parent Loop BB1_1 Depth=1
                                        ; =>  This Inner Loop Header: Depth=2
	global_load_dwordx2 v[1:2], v0, s[0:1] glc
	s_waitcnt vmcnt(0)
	v_cmp_ne_u64_e32 vcc, s[8:9], v[1:2]
	s_cbranch_vccnz .LBB1_525
; %bb.526:                              ;   in Loop: Header=BB1_1 Depth=1
	v_mov_b32_e32 v1, s8
	v_mov_b32_e32 v2, s9
	s_add_i32 s8, s4, 0x107
	s_mov_b32 s9, s5
	global_store_dwordx2 v0, v[1:2], s[2:3]
.LBB1_527:                              ;   Parent Loop BB1_1 Depth=1
                                        ; =>  This Inner Loop Header: Depth=2
	global_load_dwordx2 v[1:2], v0, s[0:1] glc
	s_waitcnt vmcnt(0)
	v_cmp_ne_u64_e32 vcc, s[8:9], v[1:2]
	s_cbranch_vccnz .LBB1_527
; %bb.528:                              ;   in Loop: Header=BB1_1 Depth=1
	v_mov_b32_e32 v1, s8
	v_mov_b32_e32 v2, s9
	s_add_i32 s8, s4, 0x108
	s_mov_b32 s9, s5
	global_store_dwordx2 v0, v[1:2], s[2:3]
.LBB1_529:                              ;   Parent Loop BB1_1 Depth=1
                                        ; =>  This Inner Loop Header: Depth=2
	global_load_dwordx2 v[1:2], v0, s[0:1] glc
	s_waitcnt vmcnt(0)
	v_cmp_ne_u64_e32 vcc, s[8:9], v[1:2]
	s_cbranch_vccnz .LBB1_529
; %bb.530:                              ;   in Loop: Header=BB1_1 Depth=1
	v_mov_b32_e32 v1, s8
	v_mov_b32_e32 v2, s9
	s_add_i32 s8, s4, 0x109
	s_mov_b32 s9, s5
	global_store_dwordx2 v0, v[1:2], s[2:3]
.LBB1_531:                              ;   Parent Loop BB1_1 Depth=1
                                        ; =>  This Inner Loop Header: Depth=2
	global_load_dwordx2 v[1:2], v0, s[0:1] glc
	s_waitcnt vmcnt(0)
	v_cmp_ne_u64_e32 vcc, s[8:9], v[1:2]
	s_cbranch_vccnz .LBB1_531
; %bb.532:                              ;   in Loop: Header=BB1_1 Depth=1
	v_mov_b32_e32 v1, s8
	v_mov_b32_e32 v2, s9
	s_add_i32 s8, s4, 0x10a
	s_mov_b32 s9, s5
	global_store_dwordx2 v0, v[1:2], s[2:3]
.LBB1_533:                              ;   Parent Loop BB1_1 Depth=1
                                        ; =>  This Inner Loop Header: Depth=2
	global_load_dwordx2 v[1:2], v0, s[0:1] glc
	s_waitcnt vmcnt(0)
	v_cmp_ne_u64_e32 vcc, s[8:9], v[1:2]
	s_cbranch_vccnz .LBB1_533
; %bb.534:                              ;   in Loop: Header=BB1_1 Depth=1
	v_mov_b32_e32 v1, s8
	v_mov_b32_e32 v2, s9
	s_add_i32 s8, s4, 0x10b
	s_mov_b32 s9, s5
	global_store_dwordx2 v0, v[1:2], s[2:3]
.LBB1_535:                              ;   Parent Loop BB1_1 Depth=1
                                        ; =>  This Inner Loop Header: Depth=2
	global_load_dwordx2 v[1:2], v0, s[0:1] glc
	s_waitcnt vmcnt(0)
	v_cmp_ne_u64_e32 vcc, s[8:9], v[1:2]
	s_cbranch_vccnz .LBB1_535
; %bb.536:                              ;   in Loop: Header=BB1_1 Depth=1
	v_mov_b32_e32 v1, s8
	v_mov_b32_e32 v2, s9
	s_add_i32 s8, s4, 0x10c
	s_mov_b32 s9, s5
	global_store_dwordx2 v0, v[1:2], s[2:3]
.LBB1_537:                              ;   Parent Loop BB1_1 Depth=1
                                        ; =>  This Inner Loop Header: Depth=2
	global_load_dwordx2 v[1:2], v0, s[0:1] glc
	s_waitcnt vmcnt(0)
	v_cmp_ne_u64_e32 vcc, s[8:9], v[1:2]
	s_cbranch_vccnz .LBB1_537
; %bb.538:                              ;   in Loop: Header=BB1_1 Depth=1
	v_mov_b32_e32 v1, s8
	v_mov_b32_e32 v2, s9
	s_add_i32 s8, s4, 0x10d
	s_mov_b32 s9, s5
	global_store_dwordx2 v0, v[1:2], s[2:3]
.LBB1_539:                              ;   Parent Loop BB1_1 Depth=1
                                        ; =>  This Inner Loop Header: Depth=2
	global_load_dwordx2 v[1:2], v0, s[0:1] glc
	s_waitcnt vmcnt(0)
	v_cmp_ne_u64_e32 vcc, s[8:9], v[1:2]
	s_cbranch_vccnz .LBB1_539
; %bb.540:                              ;   in Loop: Header=BB1_1 Depth=1
	v_mov_b32_e32 v1, s8
	v_mov_b32_e32 v2, s9
	s_add_i32 s8, s4, 0x10e
	s_mov_b32 s9, s5
	global_store_dwordx2 v0, v[1:2], s[2:3]
.LBB1_541:                              ;   Parent Loop BB1_1 Depth=1
                                        ; =>  This Inner Loop Header: Depth=2
	global_load_dwordx2 v[1:2], v0, s[0:1] glc
	s_waitcnt vmcnt(0)
	v_cmp_ne_u64_e32 vcc, s[8:9], v[1:2]
	s_cbranch_vccnz .LBB1_541
; %bb.542:                              ;   in Loop: Header=BB1_1 Depth=1
	v_mov_b32_e32 v1, s8
	v_mov_b32_e32 v2, s9
	s_add_i32 s8, s4, 0x10f
	s_mov_b32 s9, s5
	global_store_dwordx2 v0, v[1:2], s[2:3]
.LBB1_543:                              ;   Parent Loop BB1_1 Depth=1
                                        ; =>  This Inner Loop Header: Depth=2
	global_load_dwordx2 v[1:2], v0, s[0:1] glc
	s_waitcnt vmcnt(0)
	v_cmp_ne_u64_e32 vcc, s[8:9], v[1:2]
	s_cbranch_vccnz .LBB1_543
; %bb.544:                              ;   in Loop: Header=BB1_1 Depth=1
	v_mov_b32_e32 v1, s8
	v_mov_b32_e32 v2, s9
	s_add_i32 s8, s4, 0x110
	s_mov_b32 s9, s5
	global_store_dwordx2 v0, v[1:2], s[2:3]
.LBB1_545:                              ;   Parent Loop BB1_1 Depth=1
                                        ; =>  This Inner Loop Header: Depth=2
	global_load_dwordx2 v[1:2], v0, s[0:1] glc
	s_waitcnt vmcnt(0)
	v_cmp_ne_u64_e32 vcc, s[8:9], v[1:2]
	s_cbranch_vccnz .LBB1_545
; %bb.546:                              ;   in Loop: Header=BB1_1 Depth=1
	v_mov_b32_e32 v1, s8
	v_mov_b32_e32 v2, s9
	s_add_i32 s8, s4, 0x111
	s_mov_b32 s9, s5
	global_store_dwordx2 v0, v[1:2], s[2:3]
.LBB1_547:                              ;   Parent Loop BB1_1 Depth=1
                                        ; =>  This Inner Loop Header: Depth=2
	global_load_dwordx2 v[1:2], v0, s[0:1] glc
	s_waitcnt vmcnt(0)
	v_cmp_ne_u64_e32 vcc, s[8:9], v[1:2]
	s_cbranch_vccnz .LBB1_547
; %bb.548:                              ;   in Loop: Header=BB1_1 Depth=1
	v_mov_b32_e32 v1, s8
	v_mov_b32_e32 v2, s9
	s_add_i32 s8, s4, 0x112
	s_mov_b32 s9, s5
	global_store_dwordx2 v0, v[1:2], s[2:3]
.LBB1_549:                              ;   Parent Loop BB1_1 Depth=1
                                        ; =>  This Inner Loop Header: Depth=2
	global_load_dwordx2 v[1:2], v0, s[0:1] glc
	s_waitcnt vmcnt(0)
	v_cmp_ne_u64_e32 vcc, s[8:9], v[1:2]
	s_cbranch_vccnz .LBB1_549
; %bb.550:                              ;   in Loop: Header=BB1_1 Depth=1
	v_mov_b32_e32 v1, s8
	v_mov_b32_e32 v2, s9
	s_add_i32 s8, s4, 0x113
	s_mov_b32 s9, s5
	global_store_dwordx2 v0, v[1:2], s[2:3]
.LBB1_551:                              ;   Parent Loop BB1_1 Depth=1
                                        ; =>  This Inner Loop Header: Depth=2
	global_load_dwordx2 v[1:2], v0, s[0:1] glc
	s_waitcnt vmcnt(0)
	v_cmp_ne_u64_e32 vcc, s[8:9], v[1:2]
	s_cbranch_vccnz .LBB1_551
; %bb.552:                              ;   in Loop: Header=BB1_1 Depth=1
	v_mov_b32_e32 v1, s8
	v_mov_b32_e32 v2, s9
	s_add_i32 s8, s4, 0x114
	s_mov_b32 s9, s5
	global_store_dwordx2 v0, v[1:2], s[2:3]
.LBB1_553:                              ;   Parent Loop BB1_1 Depth=1
                                        ; =>  This Inner Loop Header: Depth=2
	global_load_dwordx2 v[1:2], v0, s[0:1] glc
	s_waitcnt vmcnt(0)
	v_cmp_ne_u64_e32 vcc, s[8:9], v[1:2]
	s_cbranch_vccnz .LBB1_553
; %bb.554:                              ;   in Loop: Header=BB1_1 Depth=1
	v_mov_b32_e32 v1, s8
	v_mov_b32_e32 v2, s9
	s_add_i32 s8, s4, 0x115
	s_mov_b32 s9, s5
	global_store_dwordx2 v0, v[1:2], s[2:3]
.LBB1_555:                              ;   Parent Loop BB1_1 Depth=1
                                        ; =>  This Inner Loop Header: Depth=2
	global_load_dwordx2 v[1:2], v0, s[0:1] glc
	s_waitcnt vmcnt(0)
	v_cmp_ne_u64_e32 vcc, s[8:9], v[1:2]
	s_cbranch_vccnz .LBB1_555
; %bb.556:                              ;   in Loop: Header=BB1_1 Depth=1
	v_mov_b32_e32 v1, s8
	v_mov_b32_e32 v2, s9
	s_add_i32 s8, s4, 0x116
	s_mov_b32 s9, s5
	global_store_dwordx2 v0, v[1:2], s[2:3]
.LBB1_557:                              ;   Parent Loop BB1_1 Depth=1
                                        ; =>  This Inner Loop Header: Depth=2
	global_load_dwordx2 v[1:2], v0, s[0:1] glc
	s_waitcnt vmcnt(0)
	v_cmp_ne_u64_e32 vcc, s[8:9], v[1:2]
	s_cbranch_vccnz .LBB1_557
; %bb.558:                              ;   in Loop: Header=BB1_1 Depth=1
	v_mov_b32_e32 v1, s8
	v_mov_b32_e32 v2, s9
	s_add_i32 s8, s4, 0x117
	s_mov_b32 s9, s5
	global_store_dwordx2 v0, v[1:2], s[2:3]
.LBB1_559:                              ;   Parent Loop BB1_1 Depth=1
                                        ; =>  This Inner Loop Header: Depth=2
	global_load_dwordx2 v[1:2], v0, s[0:1] glc
	s_waitcnt vmcnt(0)
	v_cmp_ne_u64_e32 vcc, s[8:9], v[1:2]
	s_cbranch_vccnz .LBB1_559
; %bb.560:                              ;   in Loop: Header=BB1_1 Depth=1
	v_mov_b32_e32 v1, s8
	v_mov_b32_e32 v2, s9
	s_add_i32 s8, s4, 0x118
	s_mov_b32 s9, s5
	global_store_dwordx2 v0, v[1:2], s[2:3]
.LBB1_561:                              ;   Parent Loop BB1_1 Depth=1
                                        ; =>  This Inner Loop Header: Depth=2
	global_load_dwordx2 v[1:2], v0, s[0:1] glc
	s_waitcnt vmcnt(0)
	v_cmp_ne_u64_e32 vcc, s[8:9], v[1:2]
	s_cbranch_vccnz .LBB1_561
; %bb.562:                              ;   in Loop: Header=BB1_1 Depth=1
	v_mov_b32_e32 v1, s8
	v_mov_b32_e32 v2, s9
	s_add_i32 s8, s4, 0x119
	s_mov_b32 s9, s5
	global_store_dwordx2 v0, v[1:2], s[2:3]
.LBB1_563:                              ;   Parent Loop BB1_1 Depth=1
                                        ; =>  This Inner Loop Header: Depth=2
	global_load_dwordx2 v[1:2], v0, s[0:1] glc
	s_waitcnt vmcnt(0)
	v_cmp_ne_u64_e32 vcc, s[8:9], v[1:2]
	s_cbranch_vccnz .LBB1_563
; %bb.564:                              ;   in Loop: Header=BB1_1 Depth=1
	v_mov_b32_e32 v1, s8
	v_mov_b32_e32 v2, s9
	s_add_i32 s8, s4, 0x11a
	s_mov_b32 s9, s5
	global_store_dwordx2 v0, v[1:2], s[2:3]
.LBB1_565:                              ;   Parent Loop BB1_1 Depth=1
                                        ; =>  This Inner Loop Header: Depth=2
	global_load_dwordx2 v[1:2], v0, s[0:1] glc
	s_waitcnt vmcnt(0)
	v_cmp_ne_u64_e32 vcc, s[8:9], v[1:2]
	s_cbranch_vccnz .LBB1_565
; %bb.566:                              ;   in Loop: Header=BB1_1 Depth=1
	v_mov_b32_e32 v1, s8
	v_mov_b32_e32 v2, s9
	s_add_i32 s8, s4, 0x11b
	s_mov_b32 s9, s5
	global_store_dwordx2 v0, v[1:2], s[2:3]
.LBB1_567:                              ;   Parent Loop BB1_1 Depth=1
                                        ; =>  This Inner Loop Header: Depth=2
	global_load_dwordx2 v[1:2], v0, s[0:1] glc
	s_waitcnt vmcnt(0)
	v_cmp_ne_u64_e32 vcc, s[8:9], v[1:2]
	s_cbranch_vccnz .LBB1_567
; %bb.568:                              ;   in Loop: Header=BB1_1 Depth=1
	v_mov_b32_e32 v1, s8
	v_mov_b32_e32 v2, s9
	s_add_i32 s8, s4, 0x11c
	s_mov_b32 s9, s5
	global_store_dwordx2 v0, v[1:2], s[2:3]
.LBB1_569:                              ;   Parent Loop BB1_1 Depth=1
                                        ; =>  This Inner Loop Header: Depth=2
	global_load_dwordx2 v[1:2], v0, s[0:1] glc
	s_waitcnt vmcnt(0)
	v_cmp_ne_u64_e32 vcc, s[8:9], v[1:2]
	s_cbranch_vccnz .LBB1_569
; %bb.570:                              ;   in Loop: Header=BB1_1 Depth=1
	v_mov_b32_e32 v1, s8
	v_mov_b32_e32 v2, s9
	s_add_i32 s8, s4, 0x11d
	s_mov_b32 s9, s5
	global_store_dwordx2 v0, v[1:2], s[2:3]
.LBB1_571:                              ;   Parent Loop BB1_1 Depth=1
                                        ; =>  This Inner Loop Header: Depth=2
	global_load_dwordx2 v[1:2], v0, s[0:1] glc
	s_waitcnt vmcnt(0)
	v_cmp_ne_u64_e32 vcc, s[8:9], v[1:2]
	s_cbranch_vccnz .LBB1_571
; %bb.572:                              ;   in Loop: Header=BB1_1 Depth=1
	v_mov_b32_e32 v1, s8
	v_mov_b32_e32 v2, s9
	s_add_i32 s8, s4, 0x11e
	s_mov_b32 s9, s5
	global_store_dwordx2 v0, v[1:2], s[2:3]
.LBB1_573:                              ;   Parent Loop BB1_1 Depth=1
                                        ; =>  This Inner Loop Header: Depth=2
	global_load_dwordx2 v[1:2], v0, s[0:1] glc
	s_waitcnt vmcnt(0)
	v_cmp_ne_u64_e32 vcc, s[8:9], v[1:2]
	s_cbranch_vccnz .LBB1_573
; %bb.574:                              ;   in Loop: Header=BB1_1 Depth=1
	v_mov_b32_e32 v1, s8
	v_mov_b32_e32 v2, s9
	s_add_i32 s8, s4, 0x11f
	s_mov_b32 s9, s5
	global_store_dwordx2 v0, v[1:2], s[2:3]
.LBB1_575:                              ;   Parent Loop BB1_1 Depth=1
                                        ; =>  This Inner Loop Header: Depth=2
	global_load_dwordx2 v[1:2], v0, s[0:1] glc
	s_waitcnt vmcnt(0)
	v_cmp_ne_u64_e32 vcc, s[8:9], v[1:2]
	s_cbranch_vccnz .LBB1_575
; %bb.576:                              ;   in Loop: Header=BB1_1 Depth=1
	v_mov_b32_e32 v1, s8
	v_mov_b32_e32 v2, s9
	s_add_i32 s8, s4, 0x120
	s_mov_b32 s9, s5
	global_store_dwordx2 v0, v[1:2], s[2:3]
.LBB1_577:                              ;   Parent Loop BB1_1 Depth=1
                                        ; =>  This Inner Loop Header: Depth=2
	global_load_dwordx2 v[1:2], v0, s[0:1] glc
	s_waitcnt vmcnt(0)
	v_cmp_ne_u64_e32 vcc, s[8:9], v[1:2]
	s_cbranch_vccnz .LBB1_577
; %bb.578:                              ;   in Loop: Header=BB1_1 Depth=1
	v_mov_b32_e32 v1, s8
	v_mov_b32_e32 v2, s9
	s_add_i32 s8, s4, 0x121
	s_mov_b32 s9, s5
	global_store_dwordx2 v0, v[1:2], s[2:3]
.LBB1_579:                              ;   Parent Loop BB1_1 Depth=1
                                        ; =>  This Inner Loop Header: Depth=2
	global_load_dwordx2 v[1:2], v0, s[0:1] glc
	s_waitcnt vmcnt(0)
	v_cmp_ne_u64_e32 vcc, s[8:9], v[1:2]
	s_cbranch_vccnz .LBB1_579
; %bb.580:                              ;   in Loop: Header=BB1_1 Depth=1
	v_mov_b32_e32 v1, s8
	v_mov_b32_e32 v2, s9
	s_add_i32 s8, s4, 0x122
	s_mov_b32 s9, s5
	global_store_dwordx2 v0, v[1:2], s[2:3]
.LBB1_581:                              ;   Parent Loop BB1_1 Depth=1
                                        ; =>  This Inner Loop Header: Depth=2
	global_load_dwordx2 v[1:2], v0, s[0:1] glc
	s_waitcnt vmcnt(0)
	v_cmp_ne_u64_e32 vcc, s[8:9], v[1:2]
	s_cbranch_vccnz .LBB1_581
; %bb.582:                              ;   in Loop: Header=BB1_1 Depth=1
	v_mov_b32_e32 v1, s8
	v_mov_b32_e32 v2, s9
	s_add_i32 s8, s4, 0x123
	s_mov_b32 s9, s5
	global_store_dwordx2 v0, v[1:2], s[2:3]
.LBB1_583:                              ;   Parent Loop BB1_1 Depth=1
                                        ; =>  This Inner Loop Header: Depth=2
	global_load_dwordx2 v[1:2], v0, s[0:1] glc
	s_waitcnt vmcnt(0)
	v_cmp_ne_u64_e32 vcc, s[8:9], v[1:2]
	s_cbranch_vccnz .LBB1_583
; %bb.584:                              ;   in Loop: Header=BB1_1 Depth=1
	v_mov_b32_e32 v1, s8
	v_mov_b32_e32 v2, s9
	s_add_i32 s8, s4, 0x124
	s_mov_b32 s9, s5
	global_store_dwordx2 v0, v[1:2], s[2:3]
.LBB1_585:                              ;   Parent Loop BB1_1 Depth=1
                                        ; =>  This Inner Loop Header: Depth=2
	global_load_dwordx2 v[1:2], v0, s[0:1] glc
	s_waitcnt vmcnt(0)
	v_cmp_ne_u64_e32 vcc, s[8:9], v[1:2]
	s_cbranch_vccnz .LBB1_585
; %bb.586:                              ;   in Loop: Header=BB1_1 Depth=1
	v_mov_b32_e32 v1, s8
	v_mov_b32_e32 v2, s9
	s_add_i32 s8, s4, 0x125
	s_mov_b32 s9, s5
	global_store_dwordx2 v0, v[1:2], s[2:3]
.LBB1_587:                              ;   Parent Loop BB1_1 Depth=1
                                        ; =>  This Inner Loop Header: Depth=2
	global_load_dwordx2 v[1:2], v0, s[0:1] glc
	s_waitcnt vmcnt(0)
	v_cmp_ne_u64_e32 vcc, s[8:9], v[1:2]
	s_cbranch_vccnz .LBB1_587
; %bb.588:                              ;   in Loop: Header=BB1_1 Depth=1
	v_mov_b32_e32 v1, s8
	v_mov_b32_e32 v2, s9
	s_add_i32 s8, s4, 0x126
	s_mov_b32 s9, s5
	global_store_dwordx2 v0, v[1:2], s[2:3]
.LBB1_589:                              ;   Parent Loop BB1_1 Depth=1
                                        ; =>  This Inner Loop Header: Depth=2
	global_load_dwordx2 v[1:2], v0, s[0:1] glc
	s_waitcnt vmcnt(0)
	v_cmp_ne_u64_e32 vcc, s[8:9], v[1:2]
	s_cbranch_vccnz .LBB1_589
; %bb.590:                              ;   in Loop: Header=BB1_1 Depth=1
	v_mov_b32_e32 v1, s8
	v_mov_b32_e32 v2, s9
	s_add_i32 s8, s4, 0x127
	s_mov_b32 s9, s5
	global_store_dwordx2 v0, v[1:2], s[2:3]
.LBB1_591:                              ;   Parent Loop BB1_1 Depth=1
                                        ; =>  This Inner Loop Header: Depth=2
	global_load_dwordx2 v[1:2], v0, s[0:1] glc
	s_waitcnt vmcnt(0)
	v_cmp_ne_u64_e32 vcc, s[8:9], v[1:2]
	s_cbranch_vccnz .LBB1_591
; %bb.592:                              ;   in Loop: Header=BB1_1 Depth=1
	v_mov_b32_e32 v1, s8
	v_mov_b32_e32 v2, s9
	s_add_i32 s8, s4, 0x128
	s_mov_b32 s9, s5
	global_store_dwordx2 v0, v[1:2], s[2:3]
.LBB1_593:                              ;   Parent Loop BB1_1 Depth=1
                                        ; =>  This Inner Loop Header: Depth=2
	global_load_dwordx2 v[1:2], v0, s[0:1] glc
	s_waitcnt vmcnt(0)
	v_cmp_ne_u64_e32 vcc, s[8:9], v[1:2]
	s_cbranch_vccnz .LBB1_593
; %bb.594:                              ;   in Loop: Header=BB1_1 Depth=1
	v_mov_b32_e32 v1, s8
	v_mov_b32_e32 v2, s9
	s_add_i32 s8, s4, 0x129
	s_mov_b32 s9, s5
	global_store_dwordx2 v0, v[1:2], s[2:3]
.LBB1_595:                              ;   Parent Loop BB1_1 Depth=1
                                        ; =>  This Inner Loop Header: Depth=2
	global_load_dwordx2 v[1:2], v0, s[0:1] glc
	s_waitcnt vmcnt(0)
	v_cmp_ne_u64_e32 vcc, s[8:9], v[1:2]
	s_cbranch_vccnz .LBB1_595
; %bb.596:                              ;   in Loop: Header=BB1_1 Depth=1
	v_mov_b32_e32 v1, s8
	v_mov_b32_e32 v2, s9
	s_add_i32 s8, s4, 0x12a
	s_mov_b32 s9, s5
	global_store_dwordx2 v0, v[1:2], s[2:3]
.LBB1_597:                              ;   Parent Loop BB1_1 Depth=1
                                        ; =>  This Inner Loop Header: Depth=2
	global_load_dwordx2 v[1:2], v0, s[0:1] glc
	s_waitcnt vmcnt(0)
	v_cmp_ne_u64_e32 vcc, s[8:9], v[1:2]
	s_cbranch_vccnz .LBB1_597
; %bb.598:                              ;   in Loop: Header=BB1_1 Depth=1
	v_mov_b32_e32 v1, s8
	v_mov_b32_e32 v2, s9
	s_add_i32 s8, s4, 0x12b
	s_mov_b32 s9, s5
	global_store_dwordx2 v0, v[1:2], s[2:3]
.LBB1_599:                              ;   Parent Loop BB1_1 Depth=1
                                        ; =>  This Inner Loop Header: Depth=2
	global_load_dwordx2 v[1:2], v0, s[0:1] glc
	s_waitcnt vmcnt(0)
	v_cmp_ne_u64_e32 vcc, s[8:9], v[1:2]
	s_cbranch_vccnz .LBB1_599
; %bb.600:                              ;   in Loop: Header=BB1_1 Depth=1
	v_mov_b32_e32 v1, s8
	v_mov_b32_e32 v2, s9
	s_add_i32 s8, s4, 0x12c
	s_mov_b32 s9, s5
	global_store_dwordx2 v0, v[1:2], s[2:3]
.LBB1_601:                              ;   Parent Loop BB1_1 Depth=1
                                        ; =>  This Inner Loop Header: Depth=2
	global_load_dwordx2 v[1:2], v0, s[0:1] glc
	s_waitcnt vmcnt(0)
	v_cmp_ne_u64_e32 vcc, s[8:9], v[1:2]
	s_cbranch_vccnz .LBB1_601
; %bb.602:                              ;   in Loop: Header=BB1_1 Depth=1
	v_mov_b32_e32 v1, s8
	v_mov_b32_e32 v2, s9
	s_add_i32 s8, s4, 0x12d
	s_mov_b32 s9, s5
	global_store_dwordx2 v0, v[1:2], s[2:3]
.LBB1_603:                              ;   Parent Loop BB1_1 Depth=1
                                        ; =>  This Inner Loop Header: Depth=2
	global_load_dwordx2 v[1:2], v0, s[0:1] glc
	s_waitcnt vmcnt(0)
	v_cmp_ne_u64_e32 vcc, s[8:9], v[1:2]
	s_cbranch_vccnz .LBB1_603
; %bb.604:                              ;   in Loop: Header=BB1_1 Depth=1
	v_mov_b32_e32 v1, s8
	v_mov_b32_e32 v2, s9
	s_add_i32 s8, s4, 0x12e
	s_mov_b32 s9, s5
	global_store_dwordx2 v0, v[1:2], s[2:3]
.LBB1_605:                              ;   Parent Loop BB1_1 Depth=1
                                        ; =>  This Inner Loop Header: Depth=2
	global_load_dwordx2 v[1:2], v0, s[0:1] glc
	s_waitcnt vmcnt(0)
	v_cmp_ne_u64_e32 vcc, s[8:9], v[1:2]
	s_cbranch_vccnz .LBB1_605
; %bb.606:                              ;   in Loop: Header=BB1_1 Depth=1
	v_mov_b32_e32 v1, s8
	v_mov_b32_e32 v2, s9
	s_add_i32 s8, s4, 0x12f
	s_mov_b32 s9, s5
	global_store_dwordx2 v0, v[1:2], s[2:3]
.LBB1_607:                              ;   Parent Loop BB1_1 Depth=1
                                        ; =>  This Inner Loop Header: Depth=2
	global_load_dwordx2 v[1:2], v0, s[0:1] glc
	s_waitcnt vmcnt(0)
	v_cmp_ne_u64_e32 vcc, s[8:9], v[1:2]
	s_cbranch_vccnz .LBB1_607
; %bb.608:                              ;   in Loop: Header=BB1_1 Depth=1
	v_mov_b32_e32 v1, s8
	v_mov_b32_e32 v2, s9
	s_add_i32 s8, s4, 0x130
	s_mov_b32 s9, s5
	global_store_dwordx2 v0, v[1:2], s[2:3]
.LBB1_609:                              ;   Parent Loop BB1_1 Depth=1
                                        ; =>  This Inner Loop Header: Depth=2
	global_load_dwordx2 v[1:2], v0, s[0:1] glc
	s_waitcnt vmcnt(0)
	v_cmp_ne_u64_e32 vcc, s[8:9], v[1:2]
	s_cbranch_vccnz .LBB1_609
; %bb.610:                              ;   in Loop: Header=BB1_1 Depth=1
	v_mov_b32_e32 v1, s8
	v_mov_b32_e32 v2, s9
	s_add_i32 s8, s4, 0x131
	s_mov_b32 s9, s5
	global_store_dwordx2 v0, v[1:2], s[2:3]
.LBB1_611:                              ;   Parent Loop BB1_1 Depth=1
                                        ; =>  This Inner Loop Header: Depth=2
	global_load_dwordx2 v[1:2], v0, s[0:1] glc
	s_waitcnt vmcnt(0)
	v_cmp_ne_u64_e32 vcc, s[8:9], v[1:2]
	s_cbranch_vccnz .LBB1_611
; %bb.612:                              ;   in Loop: Header=BB1_1 Depth=1
	v_mov_b32_e32 v1, s8
	v_mov_b32_e32 v2, s9
	s_add_i32 s8, s4, 0x132
	s_mov_b32 s9, s5
	global_store_dwordx2 v0, v[1:2], s[2:3]
.LBB1_613:                              ;   Parent Loop BB1_1 Depth=1
                                        ; =>  This Inner Loop Header: Depth=2
	global_load_dwordx2 v[1:2], v0, s[0:1] glc
	s_waitcnt vmcnt(0)
	v_cmp_ne_u64_e32 vcc, s[8:9], v[1:2]
	s_cbranch_vccnz .LBB1_613
; %bb.614:                              ;   in Loop: Header=BB1_1 Depth=1
	v_mov_b32_e32 v1, s8
	v_mov_b32_e32 v2, s9
	s_add_i32 s8, s4, 0x133
	s_mov_b32 s9, s5
	global_store_dwordx2 v0, v[1:2], s[2:3]
.LBB1_615:                              ;   Parent Loop BB1_1 Depth=1
                                        ; =>  This Inner Loop Header: Depth=2
	global_load_dwordx2 v[1:2], v0, s[0:1] glc
	s_waitcnt vmcnt(0)
	v_cmp_ne_u64_e32 vcc, s[8:9], v[1:2]
	s_cbranch_vccnz .LBB1_615
; %bb.616:                              ;   in Loop: Header=BB1_1 Depth=1
	v_mov_b32_e32 v1, s8
	v_mov_b32_e32 v2, s9
	s_add_i32 s8, s4, 0x134
	s_mov_b32 s9, s5
	global_store_dwordx2 v0, v[1:2], s[2:3]
.LBB1_617:                              ;   Parent Loop BB1_1 Depth=1
                                        ; =>  This Inner Loop Header: Depth=2
	global_load_dwordx2 v[1:2], v0, s[0:1] glc
	s_waitcnt vmcnt(0)
	v_cmp_ne_u64_e32 vcc, s[8:9], v[1:2]
	s_cbranch_vccnz .LBB1_617
; %bb.618:                              ;   in Loop: Header=BB1_1 Depth=1
	v_mov_b32_e32 v1, s8
	v_mov_b32_e32 v2, s9
	s_add_i32 s8, s4, 0x135
	s_mov_b32 s9, s5
	global_store_dwordx2 v0, v[1:2], s[2:3]
.LBB1_619:                              ;   Parent Loop BB1_1 Depth=1
                                        ; =>  This Inner Loop Header: Depth=2
	global_load_dwordx2 v[1:2], v0, s[0:1] glc
	s_waitcnt vmcnt(0)
	v_cmp_ne_u64_e32 vcc, s[8:9], v[1:2]
	s_cbranch_vccnz .LBB1_619
; %bb.620:                              ;   in Loop: Header=BB1_1 Depth=1
	v_mov_b32_e32 v1, s8
	v_mov_b32_e32 v2, s9
	s_add_i32 s8, s4, 0x136
	s_mov_b32 s9, s5
	global_store_dwordx2 v0, v[1:2], s[2:3]
.LBB1_621:                              ;   Parent Loop BB1_1 Depth=1
                                        ; =>  This Inner Loop Header: Depth=2
	global_load_dwordx2 v[1:2], v0, s[0:1] glc
	s_waitcnt vmcnt(0)
	v_cmp_ne_u64_e32 vcc, s[8:9], v[1:2]
	s_cbranch_vccnz .LBB1_621
; %bb.622:                              ;   in Loop: Header=BB1_1 Depth=1
	v_mov_b32_e32 v1, s8
	v_mov_b32_e32 v2, s9
	s_add_i32 s8, s4, 0x137
	s_mov_b32 s9, s5
	global_store_dwordx2 v0, v[1:2], s[2:3]
.LBB1_623:                              ;   Parent Loop BB1_1 Depth=1
                                        ; =>  This Inner Loop Header: Depth=2
	global_load_dwordx2 v[1:2], v0, s[0:1] glc
	s_waitcnt vmcnt(0)
	v_cmp_ne_u64_e32 vcc, s[8:9], v[1:2]
	s_cbranch_vccnz .LBB1_623
; %bb.624:                              ;   in Loop: Header=BB1_1 Depth=1
	v_mov_b32_e32 v1, s8
	v_mov_b32_e32 v2, s9
	s_add_i32 s8, s4, 0x138
	s_mov_b32 s9, s5
	global_store_dwordx2 v0, v[1:2], s[2:3]
.LBB1_625:                              ;   Parent Loop BB1_1 Depth=1
                                        ; =>  This Inner Loop Header: Depth=2
	global_load_dwordx2 v[1:2], v0, s[0:1] glc
	s_waitcnt vmcnt(0)
	v_cmp_ne_u64_e32 vcc, s[8:9], v[1:2]
	s_cbranch_vccnz .LBB1_625
; %bb.626:                              ;   in Loop: Header=BB1_1 Depth=1
	v_mov_b32_e32 v1, s8
	v_mov_b32_e32 v2, s9
	s_add_i32 s8, s4, 0x139
	s_mov_b32 s9, s5
	global_store_dwordx2 v0, v[1:2], s[2:3]
.LBB1_627:                              ;   Parent Loop BB1_1 Depth=1
                                        ; =>  This Inner Loop Header: Depth=2
	global_load_dwordx2 v[1:2], v0, s[0:1] glc
	s_waitcnt vmcnt(0)
	v_cmp_ne_u64_e32 vcc, s[8:9], v[1:2]
	s_cbranch_vccnz .LBB1_627
; %bb.628:                              ;   in Loop: Header=BB1_1 Depth=1
	v_mov_b32_e32 v1, s8
	v_mov_b32_e32 v2, s9
	s_add_i32 s8, s4, 0x13a
	s_mov_b32 s9, s5
	global_store_dwordx2 v0, v[1:2], s[2:3]
.LBB1_629:                              ;   Parent Loop BB1_1 Depth=1
                                        ; =>  This Inner Loop Header: Depth=2
	global_load_dwordx2 v[1:2], v0, s[0:1] glc
	s_waitcnt vmcnt(0)
	v_cmp_ne_u64_e32 vcc, s[8:9], v[1:2]
	s_cbranch_vccnz .LBB1_629
; %bb.630:                              ;   in Loop: Header=BB1_1 Depth=1
	v_mov_b32_e32 v1, s8
	v_mov_b32_e32 v2, s9
	s_add_i32 s8, s4, 0x13b
	s_mov_b32 s9, s5
	global_store_dwordx2 v0, v[1:2], s[2:3]
.LBB1_631:                              ;   Parent Loop BB1_1 Depth=1
                                        ; =>  This Inner Loop Header: Depth=2
	global_load_dwordx2 v[1:2], v0, s[0:1] glc
	s_waitcnt vmcnt(0)
	v_cmp_ne_u64_e32 vcc, s[8:9], v[1:2]
	s_cbranch_vccnz .LBB1_631
; %bb.632:                              ;   in Loop: Header=BB1_1 Depth=1
	v_mov_b32_e32 v1, s8
	v_mov_b32_e32 v2, s9
	s_add_i32 s8, s4, 0x13c
	s_mov_b32 s9, s5
	global_store_dwordx2 v0, v[1:2], s[2:3]
.LBB1_633:                              ;   Parent Loop BB1_1 Depth=1
                                        ; =>  This Inner Loop Header: Depth=2
	global_load_dwordx2 v[1:2], v0, s[0:1] glc
	s_waitcnt vmcnt(0)
	v_cmp_ne_u64_e32 vcc, s[8:9], v[1:2]
	s_cbranch_vccnz .LBB1_633
; %bb.634:                              ;   in Loop: Header=BB1_1 Depth=1
	v_mov_b32_e32 v1, s8
	v_mov_b32_e32 v2, s9
	s_add_i32 s8, s4, 0x13d
	s_mov_b32 s9, s5
	global_store_dwordx2 v0, v[1:2], s[2:3]
.LBB1_635:                              ;   Parent Loop BB1_1 Depth=1
                                        ; =>  This Inner Loop Header: Depth=2
	global_load_dwordx2 v[1:2], v0, s[0:1] glc
	s_waitcnt vmcnt(0)
	v_cmp_ne_u64_e32 vcc, s[8:9], v[1:2]
	s_cbranch_vccnz .LBB1_635
; %bb.636:                              ;   in Loop: Header=BB1_1 Depth=1
	v_mov_b32_e32 v1, s8
	v_mov_b32_e32 v2, s9
	s_add_i32 s8, s4, 0x13e
	s_mov_b32 s9, s5
	global_store_dwordx2 v0, v[1:2], s[2:3]
.LBB1_637:                              ;   Parent Loop BB1_1 Depth=1
                                        ; =>  This Inner Loop Header: Depth=2
	global_load_dwordx2 v[1:2], v0, s[0:1] glc
	s_waitcnt vmcnt(0)
	v_cmp_ne_u64_e32 vcc, s[8:9], v[1:2]
	s_cbranch_vccnz .LBB1_637
; %bb.638:                              ;   in Loop: Header=BB1_1 Depth=1
	v_mov_b32_e32 v1, s8
	v_mov_b32_e32 v2, s9
	s_add_i32 s8, s4, 0x13f
	s_mov_b32 s9, s5
	global_store_dwordx2 v0, v[1:2], s[2:3]
.LBB1_639:                              ;   Parent Loop BB1_1 Depth=1
                                        ; =>  This Inner Loop Header: Depth=2
	global_load_dwordx2 v[1:2], v0, s[0:1] glc
	s_waitcnt vmcnt(0)
	v_cmp_ne_u64_e32 vcc, s[8:9], v[1:2]
	s_cbranch_vccnz .LBB1_639
; %bb.640:                              ;   in Loop: Header=BB1_1 Depth=1
	v_mov_b32_e32 v1, s8
	v_mov_b32_e32 v2, s9
	s_add_i32 s8, s4, 0x140
	s_mov_b32 s9, s5
	global_store_dwordx2 v0, v[1:2], s[2:3]
.LBB1_641:                              ;   Parent Loop BB1_1 Depth=1
                                        ; =>  This Inner Loop Header: Depth=2
	global_load_dwordx2 v[1:2], v0, s[0:1] glc
	s_waitcnt vmcnt(0)
	v_cmp_ne_u64_e32 vcc, s[8:9], v[1:2]
	s_cbranch_vccnz .LBB1_641
; %bb.642:                              ;   in Loop: Header=BB1_1 Depth=1
	v_mov_b32_e32 v1, s8
	v_mov_b32_e32 v2, s9
	s_add_i32 s8, s4, 0x141
	s_mov_b32 s9, s5
	global_store_dwordx2 v0, v[1:2], s[2:3]
.LBB1_643:                              ;   Parent Loop BB1_1 Depth=1
                                        ; =>  This Inner Loop Header: Depth=2
	global_load_dwordx2 v[1:2], v0, s[0:1] glc
	s_waitcnt vmcnt(0)
	v_cmp_ne_u64_e32 vcc, s[8:9], v[1:2]
	s_cbranch_vccnz .LBB1_643
; %bb.644:                              ;   in Loop: Header=BB1_1 Depth=1
	v_mov_b32_e32 v1, s8
	v_mov_b32_e32 v2, s9
	s_add_i32 s8, s4, 0x142
	s_mov_b32 s9, s5
	global_store_dwordx2 v0, v[1:2], s[2:3]
.LBB1_645:                              ;   Parent Loop BB1_1 Depth=1
                                        ; =>  This Inner Loop Header: Depth=2
	global_load_dwordx2 v[1:2], v0, s[0:1] glc
	s_waitcnt vmcnt(0)
	v_cmp_ne_u64_e32 vcc, s[8:9], v[1:2]
	s_cbranch_vccnz .LBB1_645
; %bb.646:                              ;   in Loop: Header=BB1_1 Depth=1
	v_mov_b32_e32 v1, s8
	v_mov_b32_e32 v2, s9
	s_add_i32 s8, s4, 0x143
	s_mov_b32 s9, s5
	global_store_dwordx2 v0, v[1:2], s[2:3]
.LBB1_647:                              ;   Parent Loop BB1_1 Depth=1
                                        ; =>  This Inner Loop Header: Depth=2
	global_load_dwordx2 v[1:2], v0, s[0:1] glc
	s_waitcnt vmcnt(0)
	v_cmp_ne_u64_e32 vcc, s[8:9], v[1:2]
	s_cbranch_vccnz .LBB1_647
; %bb.648:                              ;   in Loop: Header=BB1_1 Depth=1
	v_mov_b32_e32 v1, s8
	v_mov_b32_e32 v2, s9
	s_add_i32 s8, s4, 0x144
	s_mov_b32 s9, s5
	global_store_dwordx2 v0, v[1:2], s[2:3]
.LBB1_649:                              ;   Parent Loop BB1_1 Depth=1
                                        ; =>  This Inner Loop Header: Depth=2
	global_load_dwordx2 v[1:2], v0, s[0:1] glc
	s_waitcnt vmcnt(0)
	v_cmp_ne_u64_e32 vcc, s[8:9], v[1:2]
	s_cbranch_vccnz .LBB1_649
; %bb.650:                              ;   in Loop: Header=BB1_1 Depth=1
	v_mov_b32_e32 v1, s8
	v_mov_b32_e32 v2, s9
	s_add_i32 s8, s4, 0x145
	s_mov_b32 s9, s5
	global_store_dwordx2 v0, v[1:2], s[2:3]
.LBB1_651:                              ;   Parent Loop BB1_1 Depth=1
                                        ; =>  This Inner Loop Header: Depth=2
	global_load_dwordx2 v[1:2], v0, s[0:1] glc
	s_waitcnt vmcnt(0)
	v_cmp_ne_u64_e32 vcc, s[8:9], v[1:2]
	s_cbranch_vccnz .LBB1_651
; %bb.652:                              ;   in Loop: Header=BB1_1 Depth=1
	v_mov_b32_e32 v1, s8
	v_mov_b32_e32 v2, s9
	s_add_i32 s8, s4, 0x146
	s_mov_b32 s9, s5
	global_store_dwordx2 v0, v[1:2], s[2:3]
.LBB1_653:                              ;   Parent Loop BB1_1 Depth=1
                                        ; =>  This Inner Loop Header: Depth=2
	global_load_dwordx2 v[1:2], v0, s[0:1] glc
	s_waitcnt vmcnt(0)
	v_cmp_ne_u64_e32 vcc, s[8:9], v[1:2]
	s_cbranch_vccnz .LBB1_653
; %bb.654:                              ;   in Loop: Header=BB1_1 Depth=1
	v_mov_b32_e32 v1, s8
	v_mov_b32_e32 v2, s9
	s_add_i32 s8, s4, 0x147
	s_mov_b32 s9, s5
	global_store_dwordx2 v0, v[1:2], s[2:3]
.LBB1_655:                              ;   Parent Loop BB1_1 Depth=1
                                        ; =>  This Inner Loop Header: Depth=2
	global_load_dwordx2 v[1:2], v0, s[0:1] glc
	s_waitcnt vmcnt(0)
	v_cmp_ne_u64_e32 vcc, s[8:9], v[1:2]
	s_cbranch_vccnz .LBB1_655
; %bb.656:                              ;   in Loop: Header=BB1_1 Depth=1
	v_mov_b32_e32 v1, s8
	v_mov_b32_e32 v2, s9
	s_add_i32 s8, s4, 0x148
	s_mov_b32 s9, s5
	global_store_dwordx2 v0, v[1:2], s[2:3]
.LBB1_657:                              ;   Parent Loop BB1_1 Depth=1
                                        ; =>  This Inner Loop Header: Depth=2
	global_load_dwordx2 v[1:2], v0, s[0:1] glc
	s_waitcnt vmcnt(0)
	v_cmp_ne_u64_e32 vcc, s[8:9], v[1:2]
	s_cbranch_vccnz .LBB1_657
; %bb.658:                              ;   in Loop: Header=BB1_1 Depth=1
	v_mov_b32_e32 v1, s8
	v_mov_b32_e32 v2, s9
	s_add_i32 s8, s4, 0x149
	s_mov_b32 s9, s5
	global_store_dwordx2 v0, v[1:2], s[2:3]
.LBB1_659:                              ;   Parent Loop BB1_1 Depth=1
                                        ; =>  This Inner Loop Header: Depth=2
	global_load_dwordx2 v[1:2], v0, s[0:1] glc
	s_waitcnt vmcnt(0)
	v_cmp_ne_u64_e32 vcc, s[8:9], v[1:2]
	s_cbranch_vccnz .LBB1_659
; %bb.660:                              ;   in Loop: Header=BB1_1 Depth=1
	v_mov_b32_e32 v1, s8
	v_mov_b32_e32 v2, s9
	s_add_i32 s8, s4, 0x14a
	s_mov_b32 s9, s5
	global_store_dwordx2 v0, v[1:2], s[2:3]
.LBB1_661:                              ;   Parent Loop BB1_1 Depth=1
                                        ; =>  This Inner Loop Header: Depth=2
	global_load_dwordx2 v[1:2], v0, s[0:1] glc
	s_waitcnt vmcnt(0)
	v_cmp_ne_u64_e32 vcc, s[8:9], v[1:2]
	s_cbranch_vccnz .LBB1_661
; %bb.662:                              ;   in Loop: Header=BB1_1 Depth=1
	v_mov_b32_e32 v1, s8
	v_mov_b32_e32 v2, s9
	s_add_i32 s8, s4, 0x14b
	s_mov_b32 s9, s5
	global_store_dwordx2 v0, v[1:2], s[2:3]
.LBB1_663:                              ;   Parent Loop BB1_1 Depth=1
                                        ; =>  This Inner Loop Header: Depth=2
	global_load_dwordx2 v[1:2], v0, s[0:1] glc
	s_waitcnt vmcnt(0)
	v_cmp_ne_u64_e32 vcc, s[8:9], v[1:2]
	s_cbranch_vccnz .LBB1_663
; %bb.664:                              ;   in Loop: Header=BB1_1 Depth=1
	v_mov_b32_e32 v1, s8
	v_mov_b32_e32 v2, s9
	s_add_i32 s8, s4, 0x14c
	s_mov_b32 s9, s5
	global_store_dwordx2 v0, v[1:2], s[2:3]
.LBB1_665:                              ;   Parent Loop BB1_1 Depth=1
                                        ; =>  This Inner Loop Header: Depth=2
	global_load_dwordx2 v[1:2], v0, s[0:1] glc
	s_waitcnt vmcnt(0)
	v_cmp_ne_u64_e32 vcc, s[8:9], v[1:2]
	s_cbranch_vccnz .LBB1_665
; %bb.666:                              ;   in Loop: Header=BB1_1 Depth=1
	v_mov_b32_e32 v1, s8
	v_mov_b32_e32 v2, s9
	s_add_i32 s8, s4, 0x14d
	s_mov_b32 s9, s5
	global_store_dwordx2 v0, v[1:2], s[2:3]
.LBB1_667:                              ;   Parent Loop BB1_1 Depth=1
                                        ; =>  This Inner Loop Header: Depth=2
	global_load_dwordx2 v[1:2], v0, s[0:1] glc
	s_waitcnt vmcnt(0)
	v_cmp_ne_u64_e32 vcc, s[8:9], v[1:2]
	s_cbranch_vccnz .LBB1_667
; %bb.668:                              ;   in Loop: Header=BB1_1 Depth=1
	v_mov_b32_e32 v1, s8
	v_mov_b32_e32 v2, s9
	s_add_i32 s8, s4, 0x14e
	s_mov_b32 s9, s5
	global_store_dwordx2 v0, v[1:2], s[2:3]
.LBB1_669:                              ;   Parent Loop BB1_1 Depth=1
                                        ; =>  This Inner Loop Header: Depth=2
	global_load_dwordx2 v[1:2], v0, s[0:1] glc
	s_waitcnt vmcnt(0)
	v_cmp_ne_u64_e32 vcc, s[8:9], v[1:2]
	s_cbranch_vccnz .LBB1_669
; %bb.670:                              ;   in Loop: Header=BB1_1 Depth=1
	v_mov_b32_e32 v1, s8
	v_mov_b32_e32 v2, s9
	s_add_i32 s8, s4, 0x14f
	s_mov_b32 s9, s5
	global_store_dwordx2 v0, v[1:2], s[2:3]
.LBB1_671:                              ;   Parent Loop BB1_1 Depth=1
                                        ; =>  This Inner Loop Header: Depth=2
	global_load_dwordx2 v[1:2], v0, s[0:1] glc
	s_waitcnt vmcnt(0)
	v_cmp_ne_u64_e32 vcc, s[8:9], v[1:2]
	s_cbranch_vccnz .LBB1_671
; %bb.672:                              ;   in Loop: Header=BB1_1 Depth=1
	v_mov_b32_e32 v1, s8
	v_mov_b32_e32 v2, s9
	s_add_i32 s8, s4, 0x150
	s_mov_b32 s9, s5
	global_store_dwordx2 v0, v[1:2], s[2:3]
.LBB1_673:                              ;   Parent Loop BB1_1 Depth=1
                                        ; =>  This Inner Loop Header: Depth=2
	global_load_dwordx2 v[1:2], v0, s[0:1] glc
	s_waitcnt vmcnt(0)
	v_cmp_ne_u64_e32 vcc, s[8:9], v[1:2]
	s_cbranch_vccnz .LBB1_673
; %bb.674:                              ;   in Loop: Header=BB1_1 Depth=1
	v_mov_b32_e32 v1, s8
	v_mov_b32_e32 v2, s9
	s_add_i32 s8, s4, 0x151
	s_mov_b32 s9, s5
	global_store_dwordx2 v0, v[1:2], s[2:3]
.LBB1_675:                              ;   Parent Loop BB1_1 Depth=1
                                        ; =>  This Inner Loop Header: Depth=2
	global_load_dwordx2 v[1:2], v0, s[0:1] glc
	s_waitcnt vmcnt(0)
	v_cmp_ne_u64_e32 vcc, s[8:9], v[1:2]
	s_cbranch_vccnz .LBB1_675
; %bb.676:                              ;   in Loop: Header=BB1_1 Depth=1
	v_mov_b32_e32 v1, s8
	v_mov_b32_e32 v2, s9
	s_add_i32 s8, s4, 0x152
	s_mov_b32 s9, s5
	global_store_dwordx2 v0, v[1:2], s[2:3]
.LBB1_677:                              ;   Parent Loop BB1_1 Depth=1
                                        ; =>  This Inner Loop Header: Depth=2
	global_load_dwordx2 v[1:2], v0, s[0:1] glc
	s_waitcnt vmcnt(0)
	v_cmp_ne_u64_e32 vcc, s[8:9], v[1:2]
	s_cbranch_vccnz .LBB1_677
; %bb.678:                              ;   in Loop: Header=BB1_1 Depth=1
	v_mov_b32_e32 v1, s8
	v_mov_b32_e32 v2, s9
	s_add_i32 s8, s4, 0x153
	s_mov_b32 s9, s5
	global_store_dwordx2 v0, v[1:2], s[2:3]
.LBB1_679:                              ;   Parent Loop BB1_1 Depth=1
                                        ; =>  This Inner Loop Header: Depth=2
	global_load_dwordx2 v[1:2], v0, s[0:1] glc
	s_waitcnt vmcnt(0)
	v_cmp_ne_u64_e32 vcc, s[8:9], v[1:2]
	s_cbranch_vccnz .LBB1_679
; %bb.680:                              ;   in Loop: Header=BB1_1 Depth=1
	v_mov_b32_e32 v1, s8
	v_mov_b32_e32 v2, s9
	s_add_i32 s8, s4, 0x154
	s_mov_b32 s9, s5
	global_store_dwordx2 v0, v[1:2], s[2:3]
.LBB1_681:                              ;   Parent Loop BB1_1 Depth=1
                                        ; =>  This Inner Loop Header: Depth=2
	global_load_dwordx2 v[1:2], v0, s[0:1] glc
	s_waitcnt vmcnt(0)
	v_cmp_ne_u64_e32 vcc, s[8:9], v[1:2]
	s_cbranch_vccnz .LBB1_681
; %bb.682:                              ;   in Loop: Header=BB1_1 Depth=1
	v_mov_b32_e32 v1, s8
	v_mov_b32_e32 v2, s9
	s_add_i32 s8, s4, 0x155
	s_mov_b32 s9, s5
	global_store_dwordx2 v0, v[1:2], s[2:3]
.LBB1_683:                              ;   Parent Loop BB1_1 Depth=1
                                        ; =>  This Inner Loop Header: Depth=2
	global_load_dwordx2 v[1:2], v0, s[0:1] glc
	s_waitcnt vmcnt(0)
	v_cmp_ne_u64_e32 vcc, s[8:9], v[1:2]
	s_cbranch_vccnz .LBB1_683
; %bb.684:                              ;   in Loop: Header=BB1_1 Depth=1
	v_mov_b32_e32 v1, s8
	v_mov_b32_e32 v2, s9
	s_add_i32 s8, s4, 0x156
	s_mov_b32 s9, s5
	global_store_dwordx2 v0, v[1:2], s[2:3]
.LBB1_685:                              ;   Parent Loop BB1_1 Depth=1
                                        ; =>  This Inner Loop Header: Depth=2
	global_load_dwordx2 v[1:2], v0, s[0:1] glc
	s_waitcnt vmcnt(0)
	v_cmp_ne_u64_e32 vcc, s[8:9], v[1:2]
	s_cbranch_vccnz .LBB1_685
; %bb.686:                              ;   in Loop: Header=BB1_1 Depth=1
	v_mov_b32_e32 v1, s8
	v_mov_b32_e32 v2, s9
	s_add_i32 s8, s4, 0x157
	s_mov_b32 s9, s5
	global_store_dwordx2 v0, v[1:2], s[2:3]
.LBB1_687:                              ;   Parent Loop BB1_1 Depth=1
                                        ; =>  This Inner Loop Header: Depth=2
	global_load_dwordx2 v[1:2], v0, s[0:1] glc
	s_waitcnt vmcnt(0)
	v_cmp_ne_u64_e32 vcc, s[8:9], v[1:2]
	s_cbranch_vccnz .LBB1_687
; %bb.688:                              ;   in Loop: Header=BB1_1 Depth=1
	v_mov_b32_e32 v1, s8
	v_mov_b32_e32 v2, s9
	s_add_i32 s8, s4, 0x158
	s_mov_b32 s9, s5
	global_store_dwordx2 v0, v[1:2], s[2:3]
.LBB1_689:                              ;   Parent Loop BB1_1 Depth=1
                                        ; =>  This Inner Loop Header: Depth=2
	global_load_dwordx2 v[1:2], v0, s[0:1] glc
	s_waitcnt vmcnt(0)
	v_cmp_ne_u64_e32 vcc, s[8:9], v[1:2]
	s_cbranch_vccnz .LBB1_689
; %bb.690:                              ;   in Loop: Header=BB1_1 Depth=1
	v_mov_b32_e32 v1, s8
	v_mov_b32_e32 v2, s9
	s_add_i32 s8, s4, 0x159
	s_mov_b32 s9, s5
	global_store_dwordx2 v0, v[1:2], s[2:3]
.LBB1_691:                              ;   Parent Loop BB1_1 Depth=1
                                        ; =>  This Inner Loop Header: Depth=2
	global_load_dwordx2 v[1:2], v0, s[0:1] glc
	s_waitcnt vmcnt(0)
	v_cmp_ne_u64_e32 vcc, s[8:9], v[1:2]
	s_cbranch_vccnz .LBB1_691
; %bb.692:                              ;   in Loop: Header=BB1_1 Depth=1
	v_mov_b32_e32 v1, s8
	v_mov_b32_e32 v2, s9
	s_add_i32 s8, s4, 0x15a
	s_mov_b32 s9, s5
	global_store_dwordx2 v0, v[1:2], s[2:3]
.LBB1_693:                              ;   Parent Loop BB1_1 Depth=1
                                        ; =>  This Inner Loop Header: Depth=2
	global_load_dwordx2 v[1:2], v0, s[0:1] glc
	s_waitcnt vmcnt(0)
	v_cmp_ne_u64_e32 vcc, s[8:9], v[1:2]
	s_cbranch_vccnz .LBB1_693
; %bb.694:                              ;   in Loop: Header=BB1_1 Depth=1
	v_mov_b32_e32 v1, s8
	v_mov_b32_e32 v2, s9
	s_add_i32 s8, s4, 0x15b
	s_mov_b32 s9, s5
	global_store_dwordx2 v0, v[1:2], s[2:3]
.LBB1_695:                              ;   Parent Loop BB1_1 Depth=1
                                        ; =>  This Inner Loop Header: Depth=2
	global_load_dwordx2 v[1:2], v0, s[0:1] glc
	s_waitcnt vmcnt(0)
	v_cmp_ne_u64_e32 vcc, s[8:9], v[1:2]
	s_cbranch_vccnz .LBB1_695
; %bb.696:                              ;   in Loop: Header=BB1_1 Depth=1
	v_mov_b32_e32 v1, s8
	v_mov_b32_e32 v2, s9
	s_add_i32 s8, s4, 0x15c
	s_mov_b32 s9, s5
	global_store_dwordx2 v0, v[1:2], s[2:3]
.LBB1_697:                              ;   Parent Loop BB1_1 Depth=1
                                        ; =>  This Inner Loop Header: Depth=2
	global_load_dwordx2 v[1:2], v0, s[0:1] glc
	s_waitcnt vmcnt(0)
	v_cmp_ne_u64_e32 vcc, s[8:9], v[1:2]
	s_cbranch_vccnz .LBB1_697
; %bb.698:                              ;   in Loop: Header=BB1_1 Depth=1
	v_mov_b32_e32 v1, s8
	v_mov_b32_e32 v2, s9
	s_add_i32 s8, s4, 0x15d
	s_mov_b32 s9, s5
	global_store_dwordx2 v0, v[1:2], s[2:3]
.LBB1_699:                              ;   Parent Loop BB1_1 Depth=1
                                        ; =>  This Inner Loop Header: Depth=2
	global_load_dwordx2 v[1:2], v0, s[0:1] glc
	s_waitcnt vmcnt(0)
	v_cmp_ne_u64_e32 vcc, s[8:9], v[1:2]
	s_cbranch_vccnz .LBB1_699
; %bb.700:                              ;   in Loop: Header=BB1_1 Depth=1
	v_mov_b32_e32 v1, s8
	v_mov_b32_e32 v2, s9
	s_add_i32 s8, s4, 0x15e
	s_mov_b32 s9, s5
	global_store_dwordx2 v0, v[1:2], s[2:3]
.LBB1_701:                              ;   Parent Loop BB1_1 Depth=1
                                        ; =>  This Inner Loop Header: Depth=2
	global_load_dwordx2 v[1:2], v0, s[0:1] glc
	s_waitcnt vmcnt(0)
	v_cmp_ne_u64_e32 vcc, s[8:9], v[1:2]
	s_cbranch_vccnz .LBB1_701
; %bb.702:                              ;   in Loop: Header=BB1_1 Depth=1
	v_mov_b32_e32 v1, s8
	v_mov_b32_e32 v2, s9
	s_add_i32 s8, s4, 0x15f
	s_mov_b32 s9, s5
	global_store_dwordx2 v0, v[1:2], s[2:3]
.LBB1_703:                              ;   Parent Loop BB1_1 Depth=1
                                        ; =>  This Inner Loop Header: Depth=2
	global_load_dwordx2 v[1:2], v0, s[0:1] glc
	s_waitcnt vmcnt(0)
	v_cmp_ne_u64_e32 vcc, s[8:9], v[1:2]
	s_cbranch_vccnz .LBB1_703
; %bb.704:                              ;   in Loop: Header=BB1_1 Depth=1
	v_mov_b32_e32 v1, s8
	v_mov_b32_e32 v2, s9
	s_add_i32 s8, s4, 0x160
	s_mov_b32 s9, s5
	global_store_dwordx2 v0, v[1:2], s[2:3]
.LBB1_705:                              ;   Parent Loop BB1_1 Depth=1
                                        ; =>  This Inner Loop Header: Depth=2
	global_load_dwordx2 v[1:2], v0, s[0:1] glc
	s_waitcnt vmcnt(0)
	v_cmp_ne_u64_e32 vcc, s[8:9], v[1:2]
	s_cbranch_vccnz .LBB1_705
; %bb.706:                              ;   in Loop: Header=BB1_1 Depth=1
	v_mov_b32_e32 v1, s8
	v_mov_b32_e32 v2, s9
	s_add_i32 s8, s4, 0x161
	s_mov_b32 s9, s5
	global_store_dwordx2 v0, v[1:2], s[2:3]
.LBB1_707:                              ;   Parent Loop BB1_1 Depth=1
                                        ; =>  This Inner Loop Header: Depth=2
	global_load_dwordx2 v[1:2], v0, s[0:1] glc
	s_waitcnt vmcnt(0)
	v_cmp_ne_u64_e32 vcc, s[8:9], v[1:2]
	s_cbranch_vccnz .LBB1_707
; %bb.708:                              ;   in Loop: Header=BB1_1 Depth=1
	v_mov_b32_e32 v1, s8
	v_mov_b32_e32 v2, s9
	s_add_i32 s8, s4, 0x162
	s_mov_b32 s9, s5
	global_store_dwordx2 v0, v[1:2], s[2:3]
.LBB1_709:                              ;   Parent Loop BB1_1 Depth=1
                                        ; =>  This Inner Loop Header: Depth=2
	global_load_dwordx2 v[1:2], v0, s[0:1] glc
	s_waitcnt vmcnt(0)
	v_cmp_ne_u64_e32 vcc, s[8:9], v[1:2]
	s_cbranch_vccnz .LBB1_709
; %bb.710:                              ;   in Loop: Header=BB1_1 Depth=1
	v_mov_b32_e32 v1, s8
	v_mov_b32_e32 v2, s9
	s_add_i32 s8, s4, 0x163
	s_mov_b32 s9, s5
	global_store_dwordx2 v0, v[1:2], s[2:3]
.LBB1_711:                              ;   Parent Loop BB1_1 Depth=1
                                        ; =>  This Inner Loop Header: Depth=2
	global_load_dwordx2 v[1:2], v0, s[0:1] glc
	s_waitcnt vmcnt(0)
	v_cmp_ne_u64_e32 vcc, s[8:9], v[1:2]
	s_cbranch_vccnz .LBB1_711
; %bb.712:                              ;   in Loop: Header=BB1_1 Depth=1
	v_mov_b32_e32 v1, s8
	v_mov_b32_e32 v2, s9
	s_add_i32 s8, s4, 0x164
	s_mov_b32 s9, s5
	global_store_dwordx2 v0, v[1:2], s[2:3]
.LBB1_713:                              ;   Parent Loop BB1_1 Depth=1
                                        ; =>  This Inner Loop Header: Depth=2
	global_load_dwordx2 v[1:2], v0, s[0:1] glc
	s_waitcnt vmcnt(0)
	v_cmp_ne_u64_e32 vcc, s[8:9], v[1:2]
	s_cbranch_vccnz .LBB1_713
; %bb.714:                              ;   in Loop: Header=BB1_1 Depth=1
	v_mov_b32_e32 v1, s8
	v_mov_b32_e32 v2, s9
	s_add_i32 s8, s4, 0x165
	s_mov_b32 s9, s5
	global_store_dwordx2 v0, v[1:2], s[2:3]
.LBB1_715:                              ;   Parent Loop BB1_1 Depth=1
                                        ; =>  This Inner Loop Header: Depth=2
	global_load_dwordx2 v[1:2], v0, s[0:1] glc
	s_waitcnt vmcnt(0)
	v_cmp_ne_u64_e32 vcc, s[8:9], v[1:2]
	s_cbranch_vccnz .LBB1_715
; %bb.716:                              ;   in Loop: Header=BB1_1 Depth=1
	v_mov_b32_e32 v1, s8
	v_mov_b32_e32 v2, s9
	s_add_i32 s8, s4, 0x166
	s_mov_b32 s9, s5
	global_store_dwordx2 v0, v[1:2], s[2:3]
.LBB1_717:                              ;   Parent Loop BB1_1 Depth=1
                                        ; =>  This Inner Loop Header: Depth=2
	global_load_dwordx2 v[1:2], v0, s[0:1] glc
	s_waitcnt vmcnt(0)
	v_cmp_ne_u64_e32 vcc, s[8:9], v[1:2]
	s_cbranch_vccnz .LBB1_717
; %bb.718:                              ;   in Loop: Header=BB1_1 Depth=1
	v_mov_b32_e32 v1, s8
	v_mov_b32_e32 v2, s9
	s_add_i32 s8, s4, 0x167
	s_mov_b32 s9, s5
	global_store_dwordx2 v0, v[1:2], s[2:3]
.LBB1_719:                              ;   Parent Loop BB1_1 Depth=1
                                        ; =>  This Inner Loop Header: Depth=2
	global_load_dwordx2 v[1:2], v0, s[0:1] glc
	s_waitcnt vmcnt(0)
	v_cmp_ne_u64_e32 vcc, s[8:9], v[1:2]
	s_cbranch_vccnz .LBB1_719
; %bb.720:                              ;   in Loop: Header=BB1_1 Depth=1
	v_mov_b32_e32 v1, s8
	v_mov_b32_e32 v2, s9
	s_add_i32 s8, s4, 0x168
	s_mov_b32 s9, s5
	global_store_dwordx2 v0, v[1:2], s[2:3]
.LBB1_721:                              ;   Parent Loop BB1_1 Depth=1
                                        ; =>  This Inner Loop Header: Depth=2
	global_load_dwordx2 v[1:2], v0, s[0:1] glc
	s_waitcnt vmcnt(0)
	v_cmp_ne_u64_e32 vcc, s[8:9], v[1:2]
	s_cbranch_vccnz .LBB1_721
; %bb.722:                              ;   in Loop: Header=BB1_1 Depth=1
	v_mov_b32_e32 v1, s8
	v_mov_b32_e32 v2, s9
	s_add_i32 s8, s4, 0x169
	s_mov_b32 s9, s5
	global_store_dwordx2 v0, v[1:2], s[2:3]
.LBB1_723:                              ;   Parent Loop BB1_1 Depth=1
                                        ; =>  This Inner Loop Header: Depth=2
	global_load_dwordx2 v[1:2], v0, s[0:1] glc
	s_waitcnt vmcnt(0)
	v_cmp_ne_u64_e32 vcc, s[8:9], v[1:2]
	s_cbranch_vccnz .LBB1_723
; %bb.724:                              ;   in Loop: Header=BB1_1 Depth=1
	v_mov_b32_e32 v1, s8
	v_mov_b32_e32 v2, s9
	s_add_i32 s8, s4, 0x16a
	s_mov_b32 s9, s5
	global_store_dwordx2 v0, v[1:2], s[2:3]
.LBB1_725:                              ;   Parent Loop BB1_1 Depth=1
                                        ; =>  This Inner Loop Header: Depth=2
	global_load_dwordx2 v[1:2], v0, s[0:1] glc
	s_waitcnt vmcnt(0)
	v_cmp_ne_u64_e32 vcc, s[8:9], v[1:2]
	s_cbranch_vccnz .LBB1_725
; %bb.726:                              ;   in Loop: Header=BB1_1 Depth=1
	v_mov_b32_e32 v1, s8
	v_mov_b32_e32 v2, s9
	s_add_i32 s8, s4, 0x16b
	s_mov_b32 s9, s5
	global_store_dwordx2 v0, v[1:2], s[2:3]
.LBB1_727:                              ;   Parent Loop BB1_1 Depth=1
                                        ; =>  This Inner Loop Header: Depth=2
	global_load_dwordx2 v[1:2], v0, s[0:1] glc
	s_waitcnt vmcnt(0)
	v_cmp_ne_u64_e32 vcc, s[8:9], v[1:2]
	s_cbranch_vccnz .LBB1_727
; %bb.728:                              ;   in Loop: Header=BB1_1 Depth=1
	v_mov_b32_e32 v1, s8
	v_mov_b32_e32 v2, s9
	s_add_i32 s8, s4, 0x16c
	s_mov_b32 s9, s5
	global_store_dwordx2 v0, v[1:2], s[2:3]
.LBB1_729:                              ;   Parent Loop BB1_1 Depth=1
                                        ; =>  This Inner Loop Header: Depth=2
	global_load_dwordx2 v[1:2], v0, s[0:1] glc
	s_waitcnt vmcnt(0)
	v_cmp_ne_u64_e32 vcc, s[8:9], v[1:2]
	s_cbranch_vccnz .LBB1_729
; %bb.730:                              ;   in Loop: Header=BB1_1 Depth=1
	v_mov_b32_e32 v1, s8
	v_mov_b32_e32 v2, s9
	s_add_i32 s8, s4, 0x16d
	s_mov_b32 s9, s5
	global_store_dwordx2 v0, v[1:2], s[2:3]
.LBB1_731:                              ;   Parent Loop BB1_1 Depth=1
                                        ; =>  This Inner Loop Header: Depth=2
	global_load_dwordx2 v[1:2], v0, s[0:1] glc
	s_waitcnt vmcnt(0)
	v_cmp_ne_u64_e32 vcc, s[8:9], v[1:2]
	s_cbranch_vccnz .LBB1_731
; %bb.732:                              ;   in Loop: Header=BB1_1 Depth=1
	v_mov_b32_e32 v1, s8
	v_mov_b32_e32 v2, s9
	s_add_i32 s8, s4, 0x16e
	s_mov_b32 s9, s5
	global_store_dwordx2 v0, v[1:2], s[2:3]
.LBB1_733:                              ;   Parent Loop BB1_1 Depth=1
                                        ; =>  This Inner Loop Header: Depth=2
	global_load_dwordx2 v[1:2], v0, s[0:1] glc
	s_waitcnt vmcnt(0)
	v_cmp_ne_u64_e32 vcc, s[8:9], v[1:2]
	s_cbranch_vccnz .LBB1_733
; %bb.734:                              ;   in Loop: Header=BB1_1 Depth=1
	v_mov_b32_e32 v1, s8
	v_mov_b32_e32 v2, s9
	s_add_i32 s8, s4, 0x16f
	s_mov_b32 s9, s5
	global_store_dwordx2 v0, v[1:2], s[2:3]
.LBB1_735:                              ;   Parent Loop BB1_1 Depth=1
                                        ; =>  This Inner Loop Header: Depth=2
	global_load_dwordx2 v[1:2], v0, s[0:1] glc
	s_waitcnt vmcnt(0)
	v_cmp_ne_u64_e32 vcc, s[8:9], v[1:2]
	s_cbranch_vccnz .LBB1_735
; %bb.736:                              ;   in Loop: Header=BB1_1 Depth=1
	v_mov_b32_e32 v1, s8
	v_mov_b32_e32 v2, s9
	s_add_i32 s8, s4, 0x170
	s_mov_b32 s9, s5
	global_store_dwordx2 v0, v[1:2], s[2:3]
.LBB1_737:                              ;   Parent Loop BB1_1 Depth=1
                                        ; =>  This Inner Loop Header: Depth=2
	global_load_dwordx2 v[1:2], v0, s[0:1] glc
	s_waitcnt vmcnt(0)
	v_cmp_ne_u64_e32 vcc, s[8:9], v[1:2]
	s_cbranch_vccnz .LBB1_737
; %bb.738:                              ;   in Loop: Header=BB1_1 Depth=1
	v_mov_b32_e32 v1, s8
	v_mov_b32_e32 v2, s9
	s_add_i32 s8, s4, 0x171
	s_mov_b32 s9, s5
	global_store_dwordx2 v0, v[1:2], s[2:3]
.LBB1_739:                              ;   Parent Loop BB1_1 Depth=1
                                        ; =>  This Inner Loop Header: Depth=2
	global_load_dwordx2 v[1:2], v0, s[0:1] glc
	s_waitcnt vmcnt(0)
	v_cmp_ne_u64_e32 vcc, s[8:9], v[1:2]
	s_cbranch_vccnz .LBB1_739
; %bb.740:                              ;   in Loop: Header=BB1_1 Depth=1
	v_mov_b32_e32 v1, s8
	v_mov_b32_e32 v2, s9
	s_add_i32 s8, s4, 0x172
	s_mov_b32 s9, s5
	global_store_dwordx2 v0, v[1:2], s[2:3]
.LBB1_741:                              ;   Parent Loop BB1_1 Depth=1
                                        ; =>  This Inner Loop Header: Depth=2
	global_load_dwordx2 v[1:2], v0, s[0:1] glc
	s_waitcnt vmcnt(0)
	v_cmp_ne_u64_e32 vcc, s[8:9], v[1:2]
	s_cbranch_vccnz .LBB1_741
; %bb.742:                              ;   in Loop: Header=BB1_1 Depth=1
	v_mov_b32_e32 v1, s8
	v_mov_b32_e32 v2, s9
	s_add_i32 s8, s4, 0x173
	s_mov_b32 s9, s5
	global_store_dwordx2 v0, v[1:2], s[2:3]
.LBB1_743:                              ;   Parent Loop BB1_1 Depth=1
                                        ; =>  This Inner Loop Header: Depth=2
	global_load_dwordx2 v[1:2], v0, s[0:1] glc
	s_waitcnt vmcnt(0)
	v_cmp_ne_u64_e32 vcc, s[8:9], v[1:2]
	s_cbranch_vccnz .LBB1_743
; %bb.744:                              ;   in Loop: Header=BB1_1 Depth=1
	v_mov_b32_e32 v1, s8
	v_mov_b32_e32 v2, s9
	s_add_i32 s8, s4, 0x174
	s_mov_b32 s9, s5
	global_store_dwordx2 v0, v[1:2], s[2:3]
.LBB1_745:                              ;   Parent Loop BB1_1 Depth=1
                                        ; =>  This Inner Loop Header: Depth=2
	global_load_dwordx2 v[1:2], v0, s[0:1] glc
	s_waitcnt vmcnt(0)
	v_cmp_ne_u64_e32 vcc, s[8:9], v[1:2]
	s_cbranch_vccnz .LBB1_745
; %bb.746:                              ;   in Loop: Header=BB1_1 Depth=1
	v_mov_b32_e32 v1, s8
	v_mov_b32_e32 v2, s9
	s_add_i32 s8, s4, 0x175
	s_mov_b32 s9, s5
	global_store_dwordx2 v0, v[1:2], s[2:3]
.LBB1_747:                              ;   Parent Loop BB1_1 Depth=1
                                        ; =>  This Inner Loop Header: Depth=2
	global_load_dwordx2 v[1:2], v0, s[0:1] glc
	s_waitcnt vmcnt(0)
	v_cmp_ne_u64_e32 vcc, s[8:9], v[1:2]
	s_cbranch_vccnz .LBB1_747
; %bb.748:                              ;   in Loop: Header=BB1_1 Depth=1
	v_mov_b32_e32 v1, s8
	v_mov_b32_e32 v2, s9
	s_add_i32 s8, s4, 0x176
	s_mov_b32 s9, s5
	global_store_dwordx2 v0, v[1:2], s[2:3]
.LBB1_749:                              ;   Parent Loop BB1_1 Depth=1
                                        ; =>  This Inner Loop Header: Depth=2
	global_load_dwordx2 v[1:2], v0, s[0:1] glc
	s_waitcnt vmcnt(0)
	v_cmp_ne_u64_e32 vcc, s[8:9], v[1:2]
	s_cbranch_vccnz .LBB1_749
; %bb.750:                              ;   in Loop: Header=BB1_1 Depth=1
	v_mov_b32_e32 v1, s8
	v_mov_b32_e32 v2, s9
	s_add_i32 s8, s4, 0x177
	s_mov_b32 s9, s5
	global_store_dwordx2 v0, v[1:2], s[2:3]
.LBB1_751:                              ;   Parent Loop BB1_1 Depth=1
                                        ; =>  This Inner Loop Header: Depth=2
	global_load_dwordx2 v[1:2], v0, s[0:1] glc
	s_waitcnt vmcnt(0)
	v_cmp_ne_u64_e32 vcc, s[8:9], v[1:2]
	s_cbranch_vccnz .LBB1_751
; %bb.752:                              ;   in Loop: Header=BB1_1 Depth=1
	v_mov_b32_e32 v1, s8
	v_mov_b32_e32 v2, s9
	s_add_i32 s8, s4, 0x178
	s_mov_b32 s9, s5
	global_store_dwordx2 v0, v[1:2], s[2:3]
.LBB1_753:                              ;   Parent Loop BB1_1 Depth=1
                                        ; =>  This Inner Loop Header: Depth=2
	global_load_dwordx2 v[1:2], v0, s[0:1] glc
	s_waitcnt vmcnt(0)
	v_cmp_ne_u64_e32 vcc, s[8:9], v[1:2]
	s_cbranch_vccnz .LBB1_753
; %bb.754:                              ;   in Loop: Header=BB1_1 Depth=1
	v_mov_b32_e32 v1, s8
	v_mov_b32_e32 v2, s9
	s_add_i32 s8, s4, 0x179
	s_mov_b32 s9, s5
	global_store_dwordx2 v0, v[1:2], s[2:3]
.LBB1_755:                              ;   Parent Loop BB1_1 Depth=1
                                        ; =>  This Inner Loop Header: Depth=2
	global_load_dwordx2 v[1:2], v0, s[0:1] glc
	s_waitcnt vmcnt(0)
	v_cmp_ne_u64_e32 vcc, s[8:9], v[1:2]
	s_cbranch_vccnz .LBB1_755
; %bb.756:                              ;   in Loop: Header=BB1_1 Depth=1
	v_mov_b32_e32 v1, s8
	v_mov_b32_e32 v2, s9
	s_add_i32 s8, s4, 0x17a
	s_mov_b32 s9, s5
	global_store_dwordx2 v0, v[1:2], s[2:3]
.LBB1_757:                              ;   Parent Loop BB1_1 Depth=1
                                        ; =>  This Inner Loop Header: Depth=2
	global_load_dwordx2 v[1:2], v0, s[0:1] glc
	s_waitcnt vmcnt(0)
	v_cmp_ne_u64_e32 vcc, s[8:9], v[1:2]
	s_cbranch_vccnz .LBB1_757
; %bb.758:                              ;   in Loop: Header=BB1_1 Depth=1
	v_mov_b32_e32 v1, s8
	v_mov_b32_e32 v2, s9
	s_add_i32 s8, s4, 0x17b
	s_mov_b32 s9, s5
	global_store_dwordx2 v0, v[1:2], s[2:3]
.LBB1_759:                              ;   Parent Loop BB1_1 Depth=1
                                        ; =>  This Inner Loop Header: Depth=2
	global_load_dwordx2 v[1:2], v0, s[0:1] glc
	s_waitcnt vmcnt(0)
	v_cmp_ne_u64_e32 vcc, s[8:9], v[1:2]
	s_cbranch_vccnz .LBB1_759
; %bb.760:                              ;   in Loop: Header=BB1_1 Depth=1
	v_mov_b32_e32 v1, s8
	v_mov_b32_e32 v2, s9
	s_add_i32 s8, s4, 0x17c
	s_mov_b32 s9, s5
	global_store_dwordx2 v0, v[1:2], s[2:3]
.LBB1_761:                              ;   Parent Loop BB1_1 Depth=1
                                        ; =>  This Inner Loop Header: Depth=2
	global_load_dwordx2 v[1:2], v0, s[0:1] glc
	s_waitcnt vmcnt(0)
	v_cmp_ne_u64_e32 vcc, s[8:9], v[1:2]
	s_cbranch_vccnz .LBB1_761
; %bb.762:                              ;   in Loop: Header=BB1_1 Depth=1
	v_mov_b32_e32 v1, s8
	v_mov_b32_e32 v2, s9
	s_add_i32 s8, s4, 0x17d
	s_mov_b32 s9, s5
	global_store_dwordx2 v0, v[1:2], s[2:3]
.LBB1_763:                              ;   Parent Loop BB1_1 Depth=1
                                        ; =>  This Inner Loop Header: Depth=2
	global_load_dwordx2 v[1:2], v0, s[0:1] glc
	s_waitcnt vmcnt(0)
	v_cmp_ne_u64_e32 vcc, s[8:9], v[1:2]
	s_cbranch_vccnz .LBB1_763
; %bb.764:                              ;   in Loop: Header=BB1_1 Depth=1
	v_mov_b32_e32 v1, s8
	v_mov_b32_e32 v2, s9
	s_add_i32 s8, s4, 0x17e
	s_mov_b32 s9, s5
	global_store_dwordx2 v0, v[1:2], s[2:3]
.LBB1_765:                              ;   Parent Loop BB1_1 Depth=1
                                        ; =>  This Inner Loop Header: Depth=2
	global_load_dwordx2 v[1:2], v0, s[0:1] glc
	s_waitcnt vmcnt(0)
	v_cmp_ne_u64_e32 vcc, s[8:9], v[1:2]
	s_cbranch_vccnz .LBB1_765
; %bb.766:                              ;   in Loop: Header=BB1_1 Depth=1
	v_mov_b32_e32 v1, s8
	v_mov_b32_e32 v2, s9
	s_add_i32 s8, s4, 0x17f
	s_mov_b32 s9, s5
	global_store_dwordx2 v0, v[1:2], s[2:3]
.LBB1_767:                              ;   Parent Loop BB1_1 Depth=1
                                        ; =>  This Inner Loop Header: Depth=2
	global_load_dwordx2 v[1:2], v0, s[0:1] glc
	s_waitcnt vmcnt(0)
	v_cmp_ne_u64_e32 vcc, s[8:9], v[1:2]
	s_cbranch_vccnz .LBB1_767
; %bb.768:                              ;   in Loop: Header=BB1_1 Depth=1
	v_mov_b32_e32 v1, s8
	v_mov_b32_e32 v2, s9
	s_add_i32 s8, s4, 0x180
	s_mov_b32 s9, s5
	global_store_dwordx2 v0, v[1:2], s[2:3]
.LBB1_769:                              ;   Parent Loop BB1_1 Depth=1
                                        ; =>  This Inner Loop Header: Depth=2
	global_load_dwordx2 v[1:2], v0, s[0:1] glc
	s_waitcnt vmcnt(0)
	v_cmp_ne_u64_e32 vcc, s[8:9], v[1:2]
	s_cbranch_vccnz .LBB1_769
; %bb.770:                              ;   in Loop: Header=BB1_1 Depth=1
	v_mov_b32_e32 v1, s8
	v_mov_b32_e32 v2, s9
	s_add_i32 s8, s4, 0x181
	s_mov_b32 s9, s5
	global_store_dwordx2 v0, v[1:2], s[2:3]
.LBB1_771:                              ;   Parent Loop BB1_1 Depth=1
                                        ; =>  This Inner Loop Header: Depth=2
	global_load_dwordx2 v[1:2], v0, s[0:1] glc
	s_waitcnt vmcnt(0)
	v_cmp_ne_u64_e32 vcc, s[8:9], v[1:2]
	s_cbranch_vccnz .LBB1_771
; %bb.772:                              ;   in Loop: Header=BB1_1 Depth=1
	v_mov_b32_e32 v1, s8
	v_mov_b32_e32 v2, s9
	s_add_i32 s8, s4, 0x182
	s_mov_b32 s9, s5
	global_store_dwordx2 v0, v[1:2], s[2:3]
.LBB1_773:                              ;   Parent Loop BB1_1 Depth=1
                                        ; =>  This Inner Loop Header: Depth=2
	global_load_dwordx2 v[1:2], v0, s[0:1] glc
	s_waitcnt vmcnt(0)
	v_cmp_ne_u64_e32 vcc, s[8:9], v[1:2]
	s_cbranch_vccnz .LBB1_773
; %bb.774:                              ;   in Loop: Header=BB1_1 Depth=1
	v_mov_b32_e32 v1, s8
	v_mov_b32_e32 v2, s9
	s_add_i32 s8, s4, 0x183
	s_mov_b32 s9, s5
	global_store_dwordx2 v0, v[1:2], s[2:3]
.LBB1_775:                              ;   Parent Loop BB1_1 Depth=1
                                        ; =>  This Inner Loop Header: Depth=2
	global_load_dwordx2 v[1:2], v0, s[0:1] glc
	s_waitcnt vmcnt(0)
	v_cmp_ne_u64_e32 vcc, s[8:9], v[1:2]
	s_cbranch_vccnz .LBB1_775
; %bb.776:                              ;   in Loop: Header=BB1_1 Depth=1
	v_mov_b32_e32 v1, s8
	v_mov_b32_e32 v2, s9
	s_add_i32 s8, s4, 0x184
	s_mov_b32 s9, s5
	global_store_dwordx2 v0, v[1:2], s[2:3]
.LBB1_777:                              ;   Parent Loop BB1_1 Depth=1
                                        ; =>  This Inner Loop Header: Depth=2
	global_load_dwordx2 v[1:2], v0, s[0:1] glc
	s_waitcnt vmcnt(0)
	v_cmp_ne_u64_e32 vcc, s[8:9], v[1:2]
	s_cbranch_vccnz .LBB1_777
; %bb.778:                              ;   in Loop: Header=BB1_1 Depth=1
	v_mov_b32_e32 v1, s8
	v_mov_b32_e32 v2, s9
	s_add_i32 s8, s4, 0x185
	s_mov_b32 s9, s5
	global_store_dwordx2 v0, v[1:2], s[2:3]
.LBB1_779:                              ;   Parent Loop BB1_1 Depth=1
                                        ; =>  This Inner Loop Header: Depth=2
	global_load_dwordx2 v[1:2], v0, s[0:1] glc
	s_waitcnt vmcnt(0)
	v_cmp_ne_u64_e32 vcc, s[8:9], v[1:2]
	s_cbranch_vccnz .LBB1_779
; %bb.780:                              ;   in Loop: Header=BB1_1 Depth=1
	v_mov_b32_e32 v1, s8
	v_mov_b32_e32 v2, s9
	s_add_i32 s8, s4, 0x186
	s_mov_b32 s9, s5
	global_store_dwordx2 v0, v[1:2], s[2:3]
.LBB1_781:                              ;   Parent Loop BB1_1 Depth=1
                                        ; =>  This Inner Loop Header: Depth=2
	global_load_dwordx2 v[1:2], v0, s[0:1] glc
	s_waitcnt vmcnt(0)
	v_cmp_ne_u64_e32 vcc, s[8:9], v[1:2]
	s_cbranch_vccnz .LBB1_781
; %bb.782:                              ;   in Loop: Header=BB1_1 Depth=1
	v_mov_b32_e32 v1, s8
	v_mov_b32_e32 v2, s9
	s_add_i32 s8, s4, 0x187
	s_mov_b32 s9, s5
	global_store_dwordx2 v0, v[1:2], s[2:3]
.LBB1_783:                              ;   Parent Loop BB1_1 Depth=1
                                        ; =>  This Inner Loop Header: Depth=2
	global_load_dwordx2 v[1:2], v0, s[0:1] glc
	s_waitcnt vmcnt(0)
	v_cmp_ne_u64_e32 vcc, s[8:9], v[1:2]
	s_cbranch_vccnz .LBB1_783
; %bb.784:                              ;   in Loop: Header=BB1_1 Depth=1
	v_mov_b32_e32 v1, s8
	v_mov_b32_e32 v2, s9
	s_add_i32 s8, s4, 0x188
	s_mov_b32 s9, s5
	global_store_dwordx2 v0, v[1:2], s[2:3]
.LBB1_785:                              ;   Parent Loop BB1_1 Depth=1
                                        ; =>  This Inner Loop Header: Depth=2
	global_load_dwordx2 v[1:2], v0, s[0:1] glc
	s_waitcnt vmcnt(0)
	v_cmp_ne_u64_e32 vcc, s[8:9], v[1:2]
	s_cbranch_vccnz .LBB1_785
; %bb.786:                              ;   in Loop: Header=BB1_1 Depth=1
	v_mov_b32_e32 v1, s8
	v_mov_b32_e32 v2, s9
	s_add_i32 s8, s4, 0x189
	s_mov_b32 s9, s5
	global_store_dwordx2 v0, v[1:2], s[2:3]
.LBB1_787:                              ;   Parent Loop BB1_1 Depth=1
                                        ; =>  This Inner Loop Header: Depth=2
	global_load_dwordx2 v[1:2], v0, s[0:1] glc
	s_waitcnt vmcnt(0)
	v_cmp_ne_u64_e32 vcc, s[8:9], v[1:2]
	s_cbranch_vccnz .LBB1_787
; %bb.788:                              ;   in Loop: Header=BB1_1 Depth=1
	v_mov_b32_e32 v1, s8
	v_mov_b32_e32 v2, s9
	s_add_i32 s8, s4, 0x18a
	s_mov_b32 s9, s5
	global_store_dwordx2 v0, v[1:2], s[2:3]
.LBB1_789:                              ;   Parent Loop BB1_1 Depth=1
                                        ; =>  This Inner Loop Header: Depth=2
	global_load_dwordx2 v[1:2], v0, s[0:1] glc
	s_waitcnt vmcnt(0)
	v_cmp_ne_u64_e32 vcc, s[8:9], v[1:2]
	s_cbranch_vccnz .LBB1_789
; %bb.790:                              ;   in Loop: Header=BB1_1 Depth=1
	v_mov_b32_e32 v1, s8
	v_mov_b32_e32 v2, s9
	s_add_i32 s8, s4, 0x18b
	s_mov_b32 s9, s5
	global_store_dwordx2 v0, v[1:2], s[2:3]
.LBB1_791:                              ;   Parent Loop BB1_1 Depth=1
                                        ; =>  This Inner Loop Header: Depth=2
	global_load_dwordx2 v[1:2], v0, s[0:1] glc
	s_waitcnt vmcnt(0)
	v_cmp_ne_u64_e32 vcc, s[8:9], v[1:2]
	s_cbranch_vccnz .LBB1_791
; %bb.792:                              ;   in Loop: Header=BB1_1 Depth=1
	v_mov_b32_e32 v1, s8
	v_mov_b32_e32 v2, s9
	s_add_i32 s8, s4, 0x18c
	s_mov_b32 s9, s5
	global_store_dwordx2 v0, v[1:2], s[2:3]
.LBB1_793:                              ;   Parent Loop BB1_1 Depth=1
                                        ; =>  This Inner Loop Header: Depth=2
	global_load_dwordx2 v[1:2], v0, s[0:1] glc
	s_waitcnt vmcnt(0)
	v_cmp_ne_u64_e32 vcc, s[8:9], v[1:2]
	s_cbranch_vccnz .LBB1_793
; %bb.794:                              ;   in Loop: Header=BB1_1 Depth=1
	v_mov_b32_e32 v1, s8
	v_mov_b32_e32 v2, s9
	s_add_i32 s8, s4, 0x18d
	s_mov_b32 s9, s5
	global_store_dwordx2 v0, v[1:2], s[2:3]
.LBB1_795:                              ;   Parent Loop BB1_1 Depth=1
                                        ; =>  This Inner Loop Header: Depth=2
	global_load_dwordx2 v[1:2], v0, s[0:1] glc
	s_waitcnt vmcnt(0)
	v_cmp_ne_u64_e32 vcc, s[8:9], v[1:2]
	s_cbranch_vccnz .LBB1_795
; %bb.796:                              ;   in Loop: Header=BB1_1 Depth=1
	v_mov_b32_e32 v1, s8
	v_mov_b32_e32 v2, s9
	s_add_i32 s8, s4, 0x18e
	s_mov_b32 s9, s5
	global_store_dwordx2 v0, v[1:2], s[2:3]
.LBB1_797:                              ;   Parent Loop BB1_1 Depth=1
                                        ; =>  This Inner Loop Header: Depth=2
	global_load_dwordx2 v[1:2], v0, s[0:1] glc
	s_waitcnt vmcnt(0)
	v_cmp_ne_u64_e32 vcc, s[8:9], v[1:2]
	s_cbranch_vccnz .LBB1_797
; %bb.798:                              ;   in Loop: Header=BB1_1 Depth=1
	v_mov_b32_e32 v1, s8
	v_mov_b32_e32 v2, s9
	s_add_i32 s8, s4, 0x18f
	s_mov_b32 s9, s5
	global_store_dwordx2 v0, v[1:2], s[2:3]
.LBB1_799:                              ;   Parent Loop BB1_1 Depth=1
                                        ; =>  This Inner Loop Header: Depth=2
	global_load_dwordx2 v[1:2], v0, s[0:1] glc
	s_waitcnt vmcnt(0)
	v_cmp_ne_u64_e32 vcc, s[8:9], v[1:2]
	s_cbranch_vccnz .LBB1_799
; %bb.800:                              ;   in Loop: Header=BB1_1 Depth=1
	v_mov_b32_e32 v1, s8
	v_mov_b32_e32 v2, s9
	s_add_i32 s8, s4, 0x190
	s_mov_b32 s9, s5
	global_store_dwordx2 v0, v[1:2], s[2:3]
.LBB1_801:                              ;   Parent Loop BB1_1 Depth=1
                                        ; =>  This Inner Loop Header: Depth=2
	global_load_dwordx2 v[1:2], v0, s[0:1] glc
	s_waitcnt vmcnt(0)
	v_cmp_ne_u64_e32 vcc, s[8:9], v[1:2]
	s_cbranch_vccnz .LBB1_801
; %bb.802:                              ;   in Loop: Header=BB1_1 Depth=1
	v_mov_b32_e32 v1, s8
	v_mov_b32_e32 v2, s9
	s_add_i32 s8, s4, 0x191
	s_mov_b32 s9, s5
	global_store_dwordx2 v0, v[1:2], s[2:3]
.LBB1_803:                              ;   Parent Loop BB1_1 Depth=1
                                        ; =>  This Inner Loop Header: Depth=2
	global_load_dwordx2 v[1:2], v0, s[0:1] glc
	s_waitcnt vmcnt(0)
	v_cmp_ne_u64_e32 vcc, s[8:9], v[1:2]
	s_cbranch_vccnz .LBB1_803
; %bb.804:                              ;   in Loop: Header=BB1_1 Depth=1
	v_mov_b32_e32 v1, s8
	v_mov_b32_e32 v2, s9
	s_add_i32 s8, s4, 0x192
	s_mov_b32 s9, s5
	global_store_dwordx2 v0, v[1:2], s[2:3]
.LBB1_805:                              ;   Parent Loop BB1_1 Depth=1
                                        ; =>  This Inner Loop Header: Depth=2
	global_load_dwordx2 v[1:2], v0, s[0:1] glc
	s_waitcnt vmcnt(0)
	v_cmp_ne_u64_e32 vcc, s[8:9], v[1:2]
	s_cbranch_vccnz .LBB1_805
; %bb.806:                              ;   in Loop: Header=BB1_1 Depth=1
	v_mov_b32_e32 v1, s8
	v_mov_b32_e32 v2, s9
	s_add_i32 s8, s4, 0x193
	s_mov_b32 s9, s5
	global_store_dwordx2 v0, v[1:2], s[2:3]
.LBB1_807:                              ;   Parent Loop BB1_1 Depth=1
                                        ; =>  This Inner Loop Header: Depth=2
	global_load_dwordx2 v[1:2], v0, s[0:1] glc
	s_waitcnt vmcnt(0)
	v_cmp_ne_u64_e32 vcc, s[8:9], v[1:2]
	s_cbranch_vccnz .LBB1_807
; %bb.808:                              ;   in Loop: Header=BB1_1 Depth=1
	v_mov_b32_e32 v1, s8
	v_mov_b32_e32 v2, s9
	s_add_i32 s8, s4, 0x194
	s_mov_b32 s9, s5
	global_store_dwordx2 v0, v[1:2], s[2:3]
.LBB1_809:                              ;   Parent Loop BB1_1 Depth=1
                                        ; =>  This Inner Loop Header: Depth=2
	global_load_dwordx2 v[1:2], v0, s[0:1] glc
	s_waitcnt vmcnt(0)
	v_cmp_ne_u64_e32 vcc, s[8:9], v[1:2]
	s_cbranch_vccnz .LBB1_809
; %bb.810:                              ;   in Loop: Header=BB1_1 Depth=1
	v_mov_b32_e32 v1, s8
	v_mov_b32_e32 v2, s9
	s_add_i32 s8, s4, 0x195
	s_mov_b32 s9, s5
	global_store_dwordx2 v0, v[1:2], s[2:3]
.LBB1_811:                              ;   Parent Loop BB1_1 Depth=1
                                        ; =>  This Inner Loop Header: Depth=2
	global_load_dwordx2 v[1:2], v0, s[0:1] glc
	s_waitcnt vmcnt(0)
	v_cmp_ne_u64_e32 vcc, s[8:9], v[1:2]
	s_cbranch_vccnz .LBB1_811
; %bb.812:                              ;   in Loop: Header=BB1_1 Depth=1
	v_mov_b32_e32 v1, s8
	v_mov_b32_e32 v2, s9
	s_add_i32 s8, s4, 0x196
	s_mov_b32 s9, s5
	global_store_dwordx2 v0, v[1:2], s[2:3]
.LBB1_813:                              ;   Parent Loop BB1_1 Depth=1
                                        ; =>  This Inner Loop Header: Depth=2
	global_load_dwordx2 v[1:2], v0, s[0:1] glc
	s_waitcnt vmcnt(0)
	v_cmp_ne_u64_e32 vcc, s[8:9], v[1:2]
	s_cbranch_vccnz .LBB1_813
; %bb.814:                              ;   in Loop: Header=BB1_1 Depth=1
	v_mov_b32_e32 v1, s8
	v_mov_b32_e32 v2, s9
	s_add_i32 s8, s4, 0x197
	s_mov_b32 s9, s5
	global_store_dwordx2 v0, v[1:2], s[2:3]
.LBB1_815:                              ;   Parent Loop BB1_1 Depth=1
                                        ; =>  This Inner Loop Header: Depth=2
	global_load_dwordx2 v[1:2], v0, s[0:1] glc
	s_waitcnt vmcnt(0)
	v_cmp_ne_u64_e32 vcc, s[8:9], v[1:2]
	s_cbranch_vccnz .LBB1_815
; %bb.816:                              ;   in Loop: Header=BB1_1 Depth=1
	v_mov_b32_e32 v1, s8
	v_mov_b32_e32 v2, s9
	s_add_i32 s8, s4, 0x198
	s_mov_b32 s9, s5
	global_store_dwordx2 v0, v[1:2], s[2:3]
.LBB1_817:                              ;   Parent Loop BB1_1 Depth=1
                                        ; =>  This Inner Loop Header: Depth=2
	global_load_dwordx2 v[1:2], v0, s[0:1] glc
	s_waitcnt vmcnt(0)
	v_cmp_ne_u64_e32 vcc, s[8:9], v[1:2]
	s_cbranch_vccnz .LBB1_817
; %bb.818:                              ;   in Loop: Header=BB1_1 Depth=1
	v_mov_b32_e32 v1, s8
	v_mov_b32_e32 v2, s9
	s_add_i32 s8, s4, 0x199
	s_mov_b32 s9, s5
	global_store_dwordx2 v0, v[1:2], s[2:3]
.LBB1_819:                              ;   Parent Loop BB1_1 Depth=1
                                        ; =>  This Inner Loop Header: Depth=2
	global_load_dwordx2 v[1:2], v0, s[0:1] glc
	s_waitcnt vmcnt(0)
	v_cmp_ne_u64_e32 vcc, s[8:9], v[1:2]
	s_cbranch_vccnz .LBB1_819
; %bb.820:                              ;   in Loop: Header=BB1_1 Depth=1
	v_mov_b32_e32 v1, s8
	v_mov_b32_e32 v2, s9
	s_add_i32 s8, s4, 0x19a
	s_mov_b32 s9, s5
	global_store_dwordx2 v0, v[1:2], s[2:3]
.LBB1_821:                              ;   Parent Loop BB1_1 Depth=1
                                        ; =>  This Inner Loop Header: Depth=2
	global_load_dwordx2 v[1:2], v0, s[0:1] glc
	s_waitcnt vmcnt(0)
	v_cmp_ne_u64_e32 vcc, s[8:9], v[1:2]
	s_cbranch_vccnz .LBB1_821
; %bb.822:                              ;   in Loop: Header=BB1_1 Depth=1
	v_mov_b32_e32 v1, s8
	v_mov_b32_e32 v2, s9
	s_add_i32 s8, s4, 0x19b
	s_mov_b32 s9, s5
	global_store_dwordx2 v0, v[1:2], s[2:3]
.LBB1_823:                              ;   Parent Loop BB1_1 Depth=1
                                        ; =>  This Inner Loop Header: Depth=2
	global_load_dwordx2 v[1:2], v0, s[0:1] glc
	s_waitcnt vmcnt(0)
	v_cmp_ne_u64_e32 vcc, s[8:9], v[1:2]
	s_cbranch_vccnz .LBB1_823
; %bb.824:                              ;   in Loop: Header=BB1_1 Depth=1
	v_mov_b32_e32 v1, s8
	v_mov_b32_e32 v2, s9
	s_add_i32 s8, s4, 0x19c
	s_mov_b32 s9, s5
	global_store_dwordx2 v0, v[1:2], s[2:3]
.LBB1_825:                              ;   Parent Loop BB1_1 Depth=1
                                        ; =>  This Inner Loop Header: Depth=2
	global_load_dwordx2 v[1:2], v0, s[0:1] glc
	s_waitcnt vmcnt(0)
	v_cmp_ne_u64_e32 vcc, s[8:9], v[1:2]
	s_cbranch_vccnz .LBB1_825
; %bb.826:                              ;   in Loop: Header=BB1_1 Depth=1
	v_mov_b32_e32 v1, s8
	v_mov_b32_e32 v2, s9
	s_add_i32 s8, s4, 0x19d
	s_mov_b32 s9, s5
	global_store_dwordx2 v0, v[1:2], s[2:3]
.LBB1_827:                              ;   Parent Loop BB1_1 Depth=1
                                        ; =>  This Inner Loop Header: Depth=2
	global_load_dwordx2 v[1:2], v0, s[0:1] glc
	s_waitcnt vmcnt(0)
	v_cmp_ne_u64_e32 vcc, s[8:9], v[1:2]
	s_cbranch_vccnz .LBB1_827
; %bb.828:                              ;   in Loop: Header=BB1_1 Depth=1
	v_mov_b32_e32 v1, s8
	v_mov_b32_e32 v2, s9
	s_add_i32 s8, s4, 0x19e
	s_mov_b32 s9, s5
	global_store_dwordx2 v0, v[1:2], s[2:3]
.LBB1_829:                              ;   Parent Loop BB1_1 Depth=1
                                        ; =>  This Inner Loop Header: Depth=2
	global_load_dwordx2 v[1:2], v0, s[0:1] glc
	s_waitcnt vmcnt(0)
	v_cmp_ne_u64_e32 vcc, s[8:9], v[1:2]
	s_cbranch_vccnz .LBB1_829
; %bb.830:                              ;   in Loop: Header=BB1_1 Depth=1
	v_mov_b32_e32 v1, s8
	v_mov_b32_e32 v2, s9
	s_add_i32 s8, s4, 0x19f
	s_mov_b32 s9, s5
	global_store_dwordx2 v0, v[1:2], s[2:3]
.LBB1_831:                              ;   Parent Loop BB1_1 Depth=1
                                        ; =>  This Inner Loop Header: Depth=2
	global_load_dwordx2 v[1:2], v0, s[0:1] glc
	s_waitcnt vmcnt(0)
	v_cmp_ne_u64_e32 vcc, s[8:9], v[1:2]
	s_cbranch_vccnz .LBB1_831
; %bb.832:                              ;   in Loop: Header=BB1_1 Depth=1
	v_mov_b32_e32 v1, s8
	v_mov_b32_e32 v2, s9
	s_add_i32 s8, s4, 0x1a0
	s_mov_b32 s9, s5
	global_store_dwordx2 v0, v[1:2], s[2:3]
.LBB1_833:                              ;   Parent Loop BB1_1 Depth=1
                                        ; =>  This Inner Loop Header: Depth=2
	global_load_dwordx2 v[1:2], v0, s[0:1] glc
	s_waitcnt vmcnt(0)
	v_cmp_ne_u64_e32 vcc, s[8:9], v[1:2]
	s_cbranch_vccnz .LBB1_833
; %bb.834:                              ;   in Loop: Header=BB1_1 Depth=1
	v_mov_b32_e32 v1, s8
	v_mov_b32_e32 v2, s9
	s_add_i32 s8, s4, 0x1a1
	s_mov_b32 s9, s5
	global_store_dwordx2 v0, v[1:2], s[2:3]
.LBB1_835:                              ;   Parent Loop BB1_1 Depth=1
                                        ; =>  This Inner Loop Header: Depth=2
	global_load_dwordx2 v[1:2], v0, s[0:1] glc
	s_waitcnt vmcnt(0)
	v_cmp_ne_u64_e32 vcc, s[8:9], v[1:2]
	s_cbranch_vccnz .LBB1_835
; %bb.836:                              ;   in Loop: Header=BB1_1 Depth=1
	v_mov_b32_e32 v1, s8
	v_mov_b32_e32 v2, s9
	s_add_i32 s8, s4, 0x1a2
	s_mov_b32 s9, s5
	global_store_dwordx2 v0, v[1:2], s[2:3]
.LBB1_837:                              ;   Parent Loop BB1_1 Depth=1
                                        ; =>  This Inner Loop Header: Depth=2
	global_load_dwordx2 v[1:2], v0, s[0:1] glc
	s_waitcnt vmcnt(0)
	v_cmp_ne_u64_e32 vcc, s[8:9], v[1:2]
	s_cbranch_vccnz .LBB1_837
; %bb.838:                              ;   in Loop: Header=BB1_1 Depth=1
	v_mov_b32_e32 v1, s8
	v_mov_b32_e32 v2, s9
	s_add_i32 s8, s4, 0x1a3
	s_mov_b32 s9, s5
	global_store_dwordx2 v0, v[1:2], s[2:3]
.LBB1_839:                              ;   Parent Loop BB1_1 Depth=1
                                        ; =>  This Inner Loop Header: Depth=2
	global_load_dwordx2 v[1:2], v0, s[0:1] glc
	s_waitcnt vmcnt(0)
	v_cmp_ne_u64_e32 vcc, s[8:9], v[1:2]
	s_cbranch_vccnz .LBB1_839
; %bb.840:                              ;   in Loop: Header=BB1_1 Depth=1
	v_mov_b32_e32 v1, s8
	v_mov_b32_e32 v2, s9
	s_add_i32 s8, s4, 0x1a4
	s_mov_b32 s9, s5
	global_store_dwordx2 v0, v[1:2], s[2:3]
.LBB1_841:                              ;   Parent Loop BB1_1 Depth=1
                                        ; =>  This Inner Loop Header: Depth=2
	global_load_dwordx2 v[1:2], v0, s[0:1] glc
	s_waitcnt vmcnt(0)
	v_cmp_ne_u64_e32 vcc, s[8:9], v[1:2]
	s_cbranch_vccnz .LBB1_841
; %bb.842:                              ;   in Loop: Header=BB1_1 Depth=1
	v_mov_b32_e32 v1, s8
	v_mov_b32_e32 v2, s9
	s_add_i32 s8, s4, 0x1a5
	s_mov_b32 s9, s5
	global_store_dwordx2 v0, v[1:2], s[2:3]
.LBB1_843:                              ;   Parent Loop BB1_1 Depth=1
                                        ; =>  This Inner Loop Header: Depth=2
	global_load_dwordx2 v[1:2], v0, s[0:1] glc
	s_waitcnt vmcnt(0)
	v_cmp_ne_u64_e32 vcc, s[8:9], v[1:2]
	s_cbranch_vccnz .LBB1_843
; %bb.844:                              ;   in Loop: Header=BB1_1 Depth=1
	v_mov_b32_e32 v1, s8
	v_mov_b32_e32 v2, s9
	s_add_i32 s8, s4, 0x1a6
	s_mov_b32 s9, s5
	global_store_dwordx2 v0, v[1:2], s[2:3]
.LBB1_845:                              ;   Parent Loop BB1_1 Depth=1
                                        ; =>  This Inner Loop Header: Depth=2
	global_load_dwordx2 v[1:2], v0, s[0:1] glc
	s_waitcnt vmcnt(0)
	v_cmp_ne_u64_e32 vcc, s[8:9], v[1:2]
	s_cbranch_vccnz .LBB1_845
; %bb.846:                              ;   in Loop: Header=BB1_1 Depth=1
	v_mov_b32_e32 v1, s8
	v_mov_b32_e32 v2, s9
	s_add_i32 s8, s4, 0x1a7
	s_mov_b32 s9, s5
	global_store_dwordx2 v0, v[1:2], s[2:3]
.LBB1_847:                              ;   Parent Loop BB1_1 Depth=1
                                        ; =>  This Inner Loop Header: Depth=2
	global_load_dwordx2 v[1:2], v0, s[0:1] glc
	s_waitcnt vmcnt(0)
	v_cmp_ne_u64_e32 vcc, s[8:9], v[1:2]
	s_cbranch_vccnz .LBB1_847
; %bb.848:                              ;   in Loop: Header=BB1_1 Depth=1
	v_mov_b32_e32 v1, s8
	v_mov_b32_e32 v2, s9
	s_add_i32 s8, s4, 0x1a8
	s_mov_b32 s9, s5
	global_store_dwordx2 v0, v[1:2], s[2:3]
.LBB1_849:                              ;   Parent Loop BB1_1 Depth=1
                                        ; =>  This Inner Loop Header: Depth=2
	global_load_dwordx2 v[1:2], v0, s[0:1] glc
	s_waitcnt vmcnt(0)
	v_cmp_ne_u64_e32 vcc, s[8:9], v[1:2]
	s_cbranch_vccnz .LBB1_849
; %bb.850:                              ;   in Loop: Header=BB1_1 Depth=1
	v_mov_b32_e32 v1, s8
	v_mov_b32_e32 v2, s9
	s_add_i32 s8, s4, 0x1a9
	s_mov_b32 s9, s5
	global_store_dwordx2 v0, v[1:2], s[2:3]
.LBB1_851:                              ;   Parent Loop BB1_1 Depth=1
                                        ; =>  This Inner Loop Header: Depth=2
	global_load_dwordx2 v[1:2], v0, s[0:1] glc
	s_waitcnt vmcnt(0)
	v_cmp_ne_u64_e32 vcc, s[8:9], v[1:2]
	s_cbranch_vccnz .LBB1_851
; %bb.852:                              ;   in Loop: Header=BB1_1 Depth=1
	v_mov_b32_e32 v1, s8
	v_mov_b32_e32 v2, s9
	s_add_i32 s8, s4, 0x1aa
	s_mov_b32 s9, s5
	global_store_dwordx2 v0, v[1:2], s[2:3]
.LBB1_853:                              ;   Parent Loop BB1_1 Depth=1
                                        ; =>  This Inner Loop Header: Depth=2
	global_load_dwordx2 v[1:2], v0, s[0:1] glc
	s_waitcnt vmcnt(0)
	v_cmp_ne_u64_e32 vcc, s[8:9], v[1:2]
	s_cbranch_vccnz .LBB1_853
; %bb.854:                              ;   in Loop: Header=BB1_1 Depth=1
	v_mov_b32_e32 v1, s8
	v_mov_b32_e32 v2, s9
	s_add_i32 s8, s4, 0x1ab
	s_mov_b32 s9, s5
	global_store_dwordx2 v0, v[1:2], s[2:3]
.LBB1_855:                              ;   Parent Loop BB1_1 Depth=1
                                        ; =>  This Inner Loop Header: Depth=2
	global_load_dwordx2 v[1:2], v0, s[0:1] glc
	s_waitcnt vmcnt(0)
	v_cmp_ne_u64_e32 vcc, s[8:9], v[1:2]
	s_cbranch_vccnz .LBB1_855
; %bb.856:                              ;   in Loop: Header=BB1_1 Depth=1
	v_mov_b32_e32 v1, s8
	v_mov_b32_e32 v2, s9
	s_add_i32 s8, s4, 0x1ac
	s_mov_b32 s9, s5
	global_store_dwordx2 v0, v[1:2], s[2:3]
.LBB1_857:                              ;   Parent Loop BB1_1 Depth=1
                                        ; =>  This Inner Loop Header: Depth=2
	global_load_dwordx2 v[1:2], v0, s[0:1] glc
	s_waitcnt vmcnt(0)
	v_cmp_ne_u64_e32 vcc, s[8:9], v[1:2]
	s_cbranch_vccnz .LBB1_857
; %bb.858:                              ;   in Loop: Header=BB1_1 Depth=1
	v_mov_b32_e32 v1, s8
	v_mov_b32_e32 v2, s9
	s_add_i32 s8, s4, 0x1ad
	s_mov_b32 s9, s5
	global_store_dwordx2 v0, v[1:2], s[2:3]
.LBB1_859:                              ;   Parent Loop BB1_1 Depth=1
                                        ; =>  This Inner Loop Header: Depth=2
	global_load_dwordx2 v[1:2], v0, s[0:1] glc
	s_waitcnt vmcnt(0)
	v_cmp_ne_u64_e32 vcc, s[8:9], v[1:2]
	s_cbranch_vccnz .LBB1_859
; %bb.860:                              ;   in Loop: Header=BB1_1 Depth=1
	v_mov_b32_e32 v1, s8
	v_mov_b32_e32 v2, s9
	s_add_i32 s8, s4, 0x1ae
	s_mov_b32 s9, s5
	global_store_dwordx2 v0, v[1:2], s[2:3]
.LBB1_861:                              ;   Parent Loop BB1_1 Depth=1
                                        ; =>  This Inner Loop Header: Depth=2
	global_load_dwordx2 v[1:2], v0, s[0:1] glc
	s_waitcnt vmcnt(0)
	v_cmp_ne_u64_e32 vcc, s[8:9], v[1:2]
	s_cbranch_vccnz .LBB1_861
; %bb.862:                              ;   in Loop: Header=BB1_1 Depth=1
	v_mov_b32_e32 v1, s8
	v_mov_b32_e32 v2, s9
	s_add_i32 s8, s4, 0x1af
	s_mov_b32 s9, s5
	global_store_dwordx2 v0, v[1:2], s[2:3]
.LBB1_863:                              ;   Parent Loop BB1_1 Depth=1
                                        ; =>  This Inner Loop Header: Depth=2
	global_load_dwordx2 v[1:2], v0, s[0:1] glc
	s_waitcnt vmcnt(0)
	v_cmp_ne_u64_e32 vcc, s[8:9], v[1:2]
	s_cbranch_vccnz .LBB1_863
; %bb.864:                              ;   in Loop: Header=BB1_1 Depth=1
	v_mov_b32_e32 v1, s8
	v_mov_b32_e32 v2, s9
	s_add_i32 s8, s4, 0x1b0
	s_mov_b32 s9, s5
	global_store_dwordx2 v0, v[1:2], s[2:3]
.LBB1_865:                              ;   Parent Loop BB1_1 Depth=1
                                        ; =>  This Inner Loop Header: Depth=2
	global_load_dwordx2 v[1:2], v0, s[0:1] glc
	s_waitcnt vmcnt(0)
	v_cmp_ne_u64_e32 vcc, s[8:9], v[1:2]
	s_cbranch_vccnz .LBB1_865
; %bb.866:                              ;   in Loop: Header=BB1_1 Depth=1
	v_mov_b32_e32 v1, s8
	v_mov_b32_e32 v2, s9
	s_add_i32 s8, s4, 0x1b1
	s_mov_b32 s9, s5
	global_store_dwordx2 v0, v[1:2], s[2:3]
.LBB1_867:                              ;   Parent Loop BB1_1 Depth=1
                                        ; =>  This Inner Loop Header: Depth=2
	global_load_dwordx2 v[1:2], v0, s[0:1] glc
	s_waitcnt vmcnt(0)
	v_cmp_ne_u64_e32 vcc, s[8:9], v[1:2]
	s_cbranch_vccnz .LBB1_867
; %bb.868:                              ;   in Loop: Header=BB1_1 Depth=1
	v_mov_b32_e32 v1, s8
	v_mov_b32_e32 v2, s9
	s_add_i32 s8, s4, 0x1b2
	s_mov_b32 s9, s5
	global_store_dwordx2 v0, v[1:2], s[2:3]
.LBB1_869:                              ;   Parent Loop BB1_1 Depth=1
                                        ; =>  This Inner Loop Header: Depth=2
	global_load_dwordx2 v[1:2], v0, s[0:1] glc
	s_waitcnt vmcnt(0)
	v_cmp_ne_u64_e32 vcc, s[8:9], v[1:2]
	s_cbranch_vccnz .LBB1_869
; %bb.870:                              ;   in Loop: Header=BB1_1 Depth=1
	v_mov_b32_e32 v1, s8
	v_mov_b32_e32 v2, s9
	s_add_i32 s8, s4, 0x1b3
	s_mov_b32 s9, s5
	global_store_dwordx2 v0, v[1:2], s[2:3]
.LBB1_871:                              ;   Parent Loop BB1_1 Depth=1
                                        ; =>  This Inner Loop Header: Depth=2
	global_load_dwordx2 v[1:2], v0, s[0:1] glc
	s_waitcnt vmcnt(0)
	v_cmp_ne_u64_e32 vcc, s[8:9], v[1:2]
	s_cbranch_vccnz .LBB1_871
; %bb.872:                              ;   in Loop: Header=BB1_1 Depth=1
	v_mov_b32_e32 v1, s8
	v_mov_b32_e32 v2, s9
	s_add_i32 s8, s4, 0x1b4
	s_mov_b32 s9, s5
	global_store_dwordx2 v0, v[1:2], s[2:3]
.LBB1_873:                              ;   Parent Loop BB1_1 Depth=1
                                        ; =>  This Inner Loop Header: Depth=2
	global_load_dwordx2 v[1:2], v0, s[0:1] glc
	s_waitcnt vmcnt(0)
	v_cmp_ne_u64_e32 vcc, s[8:9], v[1:2]
	s_cbranch_vccnz .LBB1_873
; %bb.874:                              ;   in Loop: Header=BB1_1 Depth=1
	v_mov_b32_e32 v1, s8
	v_mov_b32_e32 v2, s9
	s_add_i32 s8, s4, 0x1b5
	s_mov_b32 s9, s5
	global_store_dwordx2 v0, v[1:2], s[2:3]
.LBB1_875:                              ;   Parent Loop BB1_1 Depth=1
                                        ; =>  This Inner Loop Header: Depth=2
	global_load_dwordx2 v[1:2], v0, s[0:1] glc
	s_waitcnt vmcnt(0)
	v_cmp_ne_u64_e32 vcc, s[8:9], v[1:2]
	s_cbranch_vccnz .LBB1_875
; %bb.876:                              ;   in Loop: Header=BB1_1 Depth=1
	v_mov_b32_e32 v1, s8
	v_mov_b32_e32 v2, s9
	s_add_i32 s8, s4, 0x1b6
	s_mov_b32 s9, s5
	global_store_dwordx2 v0, v[1:2], s[2:3]
.LBB1_877:                              ;   Parent Loop BB1_1 Depth=1
                                        ; =>  This Inner Loop Header: Depth=2
	global_load_dwordx2 v[1:2], v0, s[0:1] glc
	s_waitcnt vmcnt(0)
	v_cmp_ne_u64_e32 vcc, s[8:9], v[1:2]
	s_cbranch_vccnz .LBB1_877
; %bb.878:                              ;   in Loop: Header=BB1_1 Depth=1
	v_mov_b32_e32 v1, s8
	v_mov_b32_e32 v2, s9
	s_add_i32 s8, s4, 0x1b7
	s_mov_b32 s9, s5
	global_store_dwordx2 v0, v[1:2], s[2:3]
.LBB1_879:                              ;   Parent Loop BB1_1 Depth=1
                                        ; =>  This Inner Loop Header: Depth=2
	global_load_dwordx2 v[1:2], v0, s[0:1] glc
	s_waitcnt vmcnt(0)
	v_cmp_ne_u64_e32 vcc, s[8:9], v[1:2]
	s_cbranch_vccnz .LBB1_879
; %bb.880:                              ;   in Loop: Header=BB1_1 Depth=1
	v_mov_b32_e32 v1, s8
	v_mov_b32_e32 v2, s9
	s_add_i32 s8, s4, 0x1b8
	s_mov_b32 s9, s5
	global_store_dwordx2 v0, v[1:2], s[2:3]
.LBB1_881:                              ;   Parent Loop BB1_1 Depth=1
                                        ; =>  This Inner Loop Header: Depth=2
	global_load_dwordx2 v[1:2], v0, s[0:1] glc
	s_waitcnt vmcnt(0)
	v_cmp_ne_u64_e32 vcc, s[8:9], v[1:2]
	s_cbranch_vccnz .LBB1_881
; %bb.882:                              ;   in Loop: Header=BB1_1 Depth=1
	v_mov_b32_e32 v1, s8
	v_mov_b32_e32 v2, s9
	s_add_i32 s8, s4, 0x1b9
	s_mov_b32 s9, s5
	global_store_dwordx2 v0, v[1:2], s[2:3]
.LBB1_883:                              ;   Parent Loop BB1_1 Depth=1
                                        ; =>  This Inner Loop Header: Depth=2
	global_load_dwordx2 v[1:2], v0, s[0:1] glc
	s_waitcnt vmcnt(0)
	v_cmp_ne_u64_e32 vcc, s[8:9], v[1:2]
	s_cbranch_vccnz .LBB1_883
; %bb.884:                              ;   in Loop: Header=BB1_1 Depth=1
	v_mov_b32_e32 v1, s8
	v_mov_b32_e32 v2, s9
	s_add_i32 s8, s4, 0x1ba
	s_mov_b32 s9, s5
	global_store_dwordx2 v0, v[1:2], s[2:3]
.LBB1_885:                              ;   Parent Loop BB1_1 Depth=1
                                        ; =>  This Inner Loop Header: Depth=2
	global_load_dwordx2 v[1:2], v0, s[0:1] glc
	s_waitcnt vmcnt(0)
	v_cmp_ne_u64_e32 vcc, s[8:9], v[1:2]
	s_cbranch_vccnz .LBB1_885
; %bb.886:                              ;   in Loop: Header=BB1_1 Depth=1
	v_mov_b32_e32 v1, s8
	v_mov_b32_e32 v2, s9
	s_add_i32 s8, s4, 0x1bb
	s_mov_b32 s9, s5
	global_store_dwordx2 v0, v[1:2], s[2:3]
.LBB1_887:                              ;   Parent Loop BB1_1 Depth=1
                                        ; =>  This Inner Loop Header: Depth=2
	global_load_dwordx2 v[1:2], v0, s[0:1] glc
	s_waitcnt vmcnt(0)
	v_cmp_ne_u64_e32 vcc, s[8:9], v[1:2]
	s_cbranch_vccnz .LBB1_887
; %bb.888:                              ;   in Loop: Header=BB1_1 Depth=1
	v_mov_b32_e32 v1, s8
	v_mov_b32_e32 v2, s9
	s_add_i32 s8, s4, 0x1bc
	s_mov_b32 s9, s5
	global_store_dwordx2 v0, v[1:2], s[2:3]
.LBB1_889:                              ;   Parent Loop BB1_1 Depth=1
                                        ; =>  This Inner Loop Header: Depth=2
	global_load_dwordx2 v[1:2], v0, s[0:1] glc
	s_waitcnt vmcnt(0)
	v_cmp_ne_u64_e32 vcc, s[8:9], v[1:2]
	s_cbranch_vccnz .LBB1_889
; %bb.890:                              ;   in Loop: Header=BB1_1 Depth=1
	v_mov_b32_e32 v1, s8
	v_mov_b32_e32 v2, s9
	s_add_i32 s8, s4, 0x1bd
	s_mov_b32 s9, s5
	global_store_dwordx2 v0, v[1:2], s[2:3]
.LBB1_891:                              ;   Parent Loop BB1_1 Depth=1
                                        ; =>  This Inner Loop Header: Depth=2
	global_load_dwordx2 v[1:2], v0, s[0:1] glc
	s_waitcnt vmcnt(0)
	v_cmp_ne_u64_e32 vcc, s[8:9], v[1:2]
	s_cbranch_vccnz .LBB1_891
; %bb.892:                              ;   in Loop: Header=BB1_1 Depth=1
	v_mov_b32_e32 v1, s8
	v_mov_b32_e32 v2, s9
	s_add_i32 s8, s4, 0x1be
	s_mov_b32 s9, s5
	global_store_dwordx2 v0, v[1:2], s[2:3]
.LBB1_893:                              ;   Parent Loop BB1_1 Depth=1
                                        ; =>  This Inner Loop Header: Depth=2
	global_load_dwordx2 v[1:2], v0, s[0:1] glc
	s_waitcnt vmcnt(0)
	v_cmp_ne_u64_e32 vcc, s[8:9], v[1:2]
	s_cbranch_vccnz .LBB1_893
; %bb.894:                              ;   in Loop: Header=BB1_1 Depth=1
	v_mov_b32_e32 v1, s8
	v_mov_b32_e32 v2, s9
	s_add_i32 s8, s4, 0x1bf
	s_mov_b32 s9, s5
	global_store_dwordx2 v0, v[1:2], s[2:3]
.LBB1_895:                              ;   Parent Loop BB1_1 Depth=1
                                        ; =>  This Inner Loop Header: Depth=2
	global_load_dwordx2 v[1:2], v0, s[0:1] glc
	s_waitcnt vmcnt(0)
	v_cmp_ne_u64_e32 vcc, s[8:9], v[1:2]
	s_cbranch_vccnz .LBB1_895
; %bb.896:                              ;   in Loop: Header=BB1_1 Depth=1
	v_mov_b32_e32 v1, s8
	v_mov_b32_e32 v2, s9
	s_add_i32 s8, s4, 0x1c0
	s_mov_b32 s9, s5
	global_store_dwordx2 v0, v[1:2], s[2:3]
.LBB1_897:                              ;   Parent Loop BB1_1 Depth=1
                                        ; =>  This Inner Loop Header: Depth=2
	global_load_dwordx2 v[1:2], v0, s[0:1] glc
	s_waitcnt vmcnt(0)
	v_cmp_ne_u64_e32 vcc, s[8:9], v[1:2]
	s_cbranch_vccnz .LBB1_897
; %bb.898:                              ;   in Loop: Header=BB1_1 Depth=1
	v_mov_b32_e32 v1, s8
	v_mov_b32_e32 v2, s9
	s_add_i32 s8, s4, 0x1c1
	s_mov_b32 s9, s5
	global_store_dwordx2 v0, v[1:2], s[2:3]
.LBB1_899:                              ;   Parent Loop BB1_1 Depth=1
                                        ; =>  This Inner Loop Header: Depth=2
	global_load_dwordx2 v[1:2], v0, s[0:1] glc
	s_waitcnt vmcnt(0)
	v_cmp_ne_u64_e32 vcc, s[8:9], v[1:2]
	s_cbranch_vccnz .LBB1_899
; %bb.900:                              ;   in Loop: Header=BB1_1 Depth=1
	v_mov_b32_e32 v1, s8
	v_mov_b32_e32 v2, s9
	s_add_i32 s8, s4, 0x1c2
	s_mov_b32 s9, s5
	global_store_dwordx2 v0, v[1:2], s[2:3]
.LBB1_901:                              ;   Parent Loop BB1_1 Depth=1
                                        ; =>  This Inner Loop Header: Depth=2
	global_load_dwordx2 v[1:2], v0, s[0:1] glc
	s_waitcnt vmcnt(0)
	v_cmp_ne_u64_e32 vcc, s[8:9], v[1:2]
	s_cbranch_vccnz .LBB1_901
; %bb.902:                              ;   in Loop: Header=BB1_1 Depth=1
	v_mov_b32_e32 v1, s8
	v_mov_b32_e32 v2, s9
	s_add_i32 s8, s4, 0x1c3
	s_mov_b32 s9, s5
	global_store_dwordx2 v0, v[1:2], s[2:3]
.LBB1_903:                              ;   Parent Loop BB1_1 Depth=1
                                        ; =>  This Inner Loop Header: Depth=2
	global_load_dwordx2 v[1:2], v0, s[0:1] glc
	s_waitcnt vmcnt(0)
	v_cmp_ne_u64_e32 vcc, s[8:9], v[1:2]
	s_cbranch_vccnz .LBB1_903
; %bb.904:                              ;   in Loop: Header=BB1_1 Depth=1
	v_mov_b32_e32 v1, s8
	v_mov_b32_e32 v2, s9
	s_add_i32 s8, s4, 0x1c4
	s_mov_b32 s9, s5
	global_store_dwordx2 v0, v[1:2], s[2:3]
.LBB1_905:                              ;   Parent Loop BB1_1 Depth=1
                                        ; =>  This Inner Loop Header: Depth=2
	global_load_dwordx2 v[1:2], v0, s[0:1] glc
	s_waitcnt vmcnt(0)
	v_cmp_ne_u64_e32 vcc, s[8:9], v[1:2]
	s_cbranch_vccnz .LBB1_905
; %bb.906:                              ;   in Loop: Header=BB1_1 Depth=1
	v_mov_b32_e32 v1, s8
	v_mov_b32_e32 v2, s9
	s_add_i32 s8, s4, 0x1c5
	s_mov_b32 s9, s5
	global_store_dwordx2 v0, v[1:2], s[2:3]
.LBB1_907:                              ;   Parent Loop BB1_1 Depth=1
                                        ; =>  This Inner Loop Header: Depth=2
	global_load_dwordx2 v[1:2], v0, s[0:1] glc
	s_waitcnt vmcnt(0)
	v_cmp_ne_u64_e32 vcc, s[8:9], v[1:2]
	s_cbranch_vccnz .LBB1_907
; %bb.908:                              ;   in Loop: Header=BB1_1 Depth=1
	v_mov_b32_e32 v1, s8
	v_mov_b32_e32 v2, s9
	s_add_i32 s8, s4, 0x1c6
	s_mov_b32 s9, s5
	global_store_dwordx2 v0, v[1:2], s[2:3]
.LBB1_909:                              ;   Parent Loop BB1_1 Depth=1
                                        ; =>  This Inner Loop Header: Depth=2
	global_load_dwordx2 v[1:2], v0, s[0:1] glc
	s_waitcnt vmcnt(0)
	v_cmp_ne_u64_e32 vcc, s[8:9], v[1:2]
	s_cbranch_vccnz .LBB1_909
; %bb.910:                              ;   in Loop: Header=BB1_1 Depth=1
	v_mov_b32_e32 v1, s8
	v_mov_b32_e32 v2, s9
	s_add_i32 s8, s4, 0x1c7
	s_mov_b32 s9, s5
	global_store_dwordx2 v0, v[1:2], s[2:3]
.LBB1_911:                              ;   Parent Loop BB1_1 Depth=1
                                        ; =>  This Inner Loop Header: Depth=2
	global_load_dwordx2 v[1:2], v0, s[0:1] glc
	s_waitcnt vmcnt(0)
	v_cmp_ne_u64_e32 vcc, s[8:9], v[1:2]
	s_cbranch_vccnz .LBB1_911
; %bb.912:                              ;   in Loop: Header=BB1_1 Depth=1
	v_mov_b32_e32 v1, s8
	v_mov_b32_e32 v2, s9
	s_add_i32 s8, s4, 0x1c8
	s_mov_b32 s9, s5
	global_store_dwordx2 v0, v[1:2], s[2:3]
.LBB1_913:                              ;   Parent Loop BB1_1 Depth=1
                                        ; =>  This Inner Loop Header: Depth=2
	global_load_dwordx2 v[1:2], v0, s[0:1] glc
	s_waitcnt vmcnt(0)
	v_cmp_ne_u64_e32 vcc, s[8:9], v[1:2]
	s_cbranch_vccnz .LBB1_913
; %bb.914:                              ;   in Loop: Header=BB1_1 Depth=1
	v_mov_b32_e32 v1, s8
	v_mov_b32_e32 v2, s9
	s_add_i32 s8, s4, 0x1c9
	s_mov_b32 s9, s5
	global_store_dwordx2 v0, v[1:2], s[2:3]
.LBB1_915:                              ;   Parent Loop BB1_1 Depth=1
                                        ; =>  This Inner Loop Header: Depth=2
	global_load_dwordx2 v[1:2], v0, s[0:1] glc
	s_waitcnt vmcnt(0)
	v_cmp_ne_u64_e32 vcc, s[8:9], v[1:2]
	s_cbranch_vccnz .LBB1_915
; %bb.916:                              ;   in Loop: Header=BB1_1 Depth=1
	v_mov_b32_e32 v1, s8
	v_mov_b32_e32 v2, s9
	s_add_i32 s8, s4, 0x1ca
	s_mov_b32 s9, s5
	global_store_dwordx2 v0, v[1:2], s[2:3]
.LBB1_917:                              ;   Parent Loop BB1_1 Depth=1
                                        ; =>  This Inner Loop Header: Depth=2
	global_load_dwordx2 v[1:2], v0, s[0:1] glc
	s_waitcnt vmcnt(0)
	v_cmp_ne_u64_e32 vcc, s[8:9], v[1:2]
	s_cbranch_vccnz .LBB1_917
; %bb.918:                              ;   in Loop: Header=BB1_1 Depth=1
	v_mov_b32_e32 v1, s8
	v_mov_b32_e32 v2, s9
	s_add_i32 s8, s4, 0x1cb
	s_mov_b32 s9, s5
	global_store_dwordx2 v0, v[1:2], s[2:3]
.LBB1_919:                              ;   Parent Loop BB1_1 Depth=1
                                        ; =>  This Inner Loop Header: Depth=2
	global_load_dwordx2 v[1:2], v0, s[0:1] glc
	s_waitcnt vmcnt(0)
	v_cmp_ne_u64_e32 vcc, s[8:9], v[1:2]
	s_cbranch_vccnz .LBB1_919
; %bb.920:                              ;   in Loop: Header=BB1_1 Depth=1
	v_mov_b32_e32 v1, s8
	v_mov_b32_e32 v2, s9
	s_add_i32 s8, s4, 0x1cc
	s_mov_b32 s9, s5
	global_store_dwordx2 v0, v[1:2], s[2:3]
.LBB1_921:                              ;   Parent Loop BB1_1 Depth=1
                                        ; =>  This Inner Loop Header: Depth=2
	global_load_dwordx2 v[1:2], v0, s[0:1] glc
	s_waitcnt vmcnt(0)
	v_cmp_ne_u64_e32 vcc, s[8:9], v[1:2]
	s_cbranch_vccnz .LBB1_921
; %bb.922:                              ;   in Loop: Header=BB1_1 Depth=1
	v_mov_b32_e32 v1, s8
	v_mov_b32_e32 v2, s9
	s_add_i32 s8, s4, 0x1cd
	s_mov_b32 s9, s5
	global_store_dwordx2 v0, v[1:2], s[2:3]
.LBB1_923:                              ;   Parent Loop BB1_1 Depth=1
                                        ; =>  This Inner Loop Header: Depth=2
	global_load_dwordx2 v[1:2], v0, s[0:1] glc
	s_waitcnt vmcnt(0)
	v_cmp_ne_u64_e32 vcc, s[8:9], v[1:2]
	s_cbranch_vccnz .LBB1_923
; %bb.924:                              ;   in Loop: Header=BB1_1 Depth=1
	v_mov_b32_e32 v1, s8
	v_mov_b32_e32 v2, s9
	s_add_i32 s8, s4, 0x1ce
	s_mov_b32 s9, s5
	global_store_dwordx2 v0, v[1:2], s[2:3]
.LBB1_925:                              ;   Parent Loop BB1_1 Depth=1
                                        ; =>  This Inner Loop Header: Depth=2
	global_load_dwordx2 v[1:2], v0, s[0:1] glc
	s_waitcnt vmcnt(0)
	v_cmp_ne_u64_e32 vcc, s[8:9], v[1:2]
	s_cbranch_vccnz .LBB1_925
; %bb.926:                              ;   in Loop: Header=BB1_1 Depth=1
	v_mov_b32_e32 v1, s8
	v_mov_b32_e32 v2, s9
	s_add_i32 s8, s4, 0x1cf
	s_mov_b32 s9, s5
	global_store_dwordx2 v0, v[1:2], s[2:3]
.LBB1_927:                              ;   Parent Loop BB1_1 Depth=1
                                        ; =>  This Inner Loop Header: Depth=2
	global_load_dwordx2 v[1:2], v0, s[0:1] glc
	s_waitcnt vmcnt(0)
	v_cmp_ne_u64_e32 vcc, s[8:9], v[1:2]
	s_cbranch_vccnz .LBB1_927
; %bb.928:                              ;   in Loop: Header=BB1_1 Depth=1
	v_mov_b32_e32 v1, s8
	v_mov_b32_e32 v2, s9
	s_add_i32 s8, s4, 0x1d0
	s_mov_b32 s9, s5
	global_store_dwordx2 v0, v[1:2], s[2:3]
.LBB1_929:                              ;   Parent Loop BB1_1 Depth=1
                                        ; =>  This Inner Loop Header: Depth=2
	global_load_dwordx2 v[1:2], v0, s[0:1] glc
	s_waitcnt vmcnt(0)
	v_cmp_ne_u64_e32 vcc, s[8:9], v[1:2]
	s_cbranch_vccnz .LBB1_929
; %bb.930:                              ;   in Loop: Header=BB1_1 Depth=1
	v_mov_b32_e32 v1, s8
	v_mov_b32_e32 v2, s9
	s_add_i32 s8, s4, 0x1d1
	s_mov_b32 s9, s5
	global_store_dwordx2 v0, v[1:2], s[2:3]
.LBB1_931:                              ;   Parent Loop BB1_1 Depth=1
                                        ; =>  This Inner Loop Header: Depth=2
	global_load_dwordx2 v[1:2], v0, s[0:1] glc
	s_waitcnt vmcnt(0)
	v_cmp_ne_u64_e32 vcc, s[8:9], v[1:2]
	s_cbranch_vccnz .LBB1_931
; %bb.932:                              ;   in Loop: Header=BB1_1 Depth=1
	v_mov_b32_e32 v1, s8
	v_mov_b32_e32 v2, s9
	s_add_i32 s8, s4, 0x1d2
	s_mov_b32 s9, s5
	global_store_dwordx2 v0, v[1:2], s[2:3]
.LBB1_933:                              ;   Parent Loop BB1_1 Depth=1
                                        ; =>  This Inner Loop Header: Depth=2
	global_load_dwordx2 v[1:2], v0, s[0:1] glc
	s_waitcnt vmcnt(0)
	v_cmp_ne_u64_e32 vcc, s[8:9], v[1:2]
	s_cbranch_vccnz .LBB1_933
; %bb.934:                              ;   in Loop: Header=BB1_1 Depth=1
	v_mov_b32_e32 v1, s8
	v_mov_b32_e32 v2, s9
	s_add_i32 s8, s4, 0x1d3
	s_mov_b32 s9, s5
	global_store_dwordx2 v0, v[1:2], s[2:3]
.LBB1_935:                              ;   Parent Loop BB1_1 Depth=1
                                        ; =>  This Inner Loop Header: Depth=2
	global_load_dwordx2 v[1:2], v0, s[0:1] glc
	s_waitcnt vmcnt(0)
	v_cmp_ne_u64_e32 vcc, s[8:9], v[1:2]
	s_cbranch_vccnz .LBB1_935
; %bb.936:                              ;   in Loop: Header=BB1_1 Depth=1
	v_mov_b32_e32 v1, s8
	v_mov_b32_e32 v2, s9
	s_add_i32 s8, s4, 0x1d4
	s_mov_b32 s9, s5
	global_store_dwordx2 v0, v[1:2], s[2:3]
.LBB1_937:                              ;   Parent Loop BB1_1 Depth=1
                                        ; =>  This Inner Loop Header: Depth=2
	global_load_dwordx2 v[1:2], v0, s[0:1] glc
	s_waitcnt vmcnt(0)
	v_cmp_ne_u64_e32 vcc, s[8:9], v[1:2]
	s_cbranch_vccnz .LBB1_937
; %bb.938:                              ;   in Loop: Header=BB1_1 Depth=1
	v_mov_b32_e32 v1, s8
	v_mov_b32_e32 v2, s9
	s_add_i32 s8, s4, 0x1d5
	s_mov_b32 s9, s5
	global_store_dwordx2 v0, v[1:2], s[2:3]
.LBB1_939:                              ;   Parent Loop BB1_1 Depth=1
                                        ; =>  This Inner Loop Header: Depth=2
	global_load_dwordx2 v[1:2], v0, s[0:1] glc
	s_waitcnt vmcnt(0)
	v_cmp_ne_u64_e32 vcc, s[8:9], v[1:2]
	s_cbranch_vccnz .LBB1_939
; %bb.940:                              ;   in Loop: Header=BB1_1 Depth=1
	v_mov_b32_e32 v1, s8
	v_mov_b32_e32 v2, s9
	s_add_i32 s8, s4, 0x1d6
	s_mov_b32 s9, s5
	global_store_dwordx2 v0, v[1:2], s[2:3]
.LBB1_941:                              ;   Parent Loop BB1_1 Depth=1
                                        ; =>  This Inner Loop Header: Depth=2
	global_load_dwordx2 v[1:2], v0, s[0:1] glc
	s_waitcnt vmcnt(0)
	v_cmp_ne_u64_e32 vcc, s[8:9], v[1:2]
	s_cbranch_vccnz .LBB1_941
; %bb.942:                              ;   in Loop: Header=BB1_1 Depth=1
	v_mov_b32_e32 v1, s8
	v_mov_b32_e32 v2, s9
	s_add_i32 s8, s4, 0x1d7
	s_mov_b32 s9, s5
	global_store_dwordx2 v0, v[1:2], s[2:3]
.LBB1_943:                              ;   Parent Loop BB1_1 Depth=1
                                        ; =>  This Inner Loop Header: Depth=2
	global_load_dwordx2 v[1:2], v0, s[0:1] glc
	s_waitcnt vmcnt(0)
	v_cmp_ne_u64_e32 vcc, s[8:9], v[1:2]
	s_cbranch_vccnz .LBB1_943
; %bb.944:                              ;   in Loop: Header=BB1_1 Depth=1
	v_mov_b32_e32 v1, s8
	v_mov_b32_e32 v2, s9
	s_add_i32 s8, s4, 0x1d8
	s_mov_b32 s9, s5
	global_store_dwordx2 v0, v[1:2], s[2:3]
.LBB1_945:                              ;   Parent Loop BB1_1 Depth=1
                                        ; =>  This Inner Loop Header: Depth=2
	global_load_dwordx2 v[1:2], v0, s[0:1] glc
	s_waitcnt vmcnt(0)
	v_cmp_ne_u64_e32 vcc, s[8:9], v[1:2]
	s_cbranch_vccnz .LBB1_945
; %bb.946:                              ;   in Loop: Header=BB1_1 Depth=1
	v_mov_b32_e32 v1, s8
	v_mov_b32_e32 v2, s9
	s_add_i32 s8, s4, 0x1d9
	s_mov_b32 s9, s5
	global_store_dwordx2 v0, v[1:2], s[2:3]
.LBB1_947:                              ;   Parent Loop BB1_1 Depth=1
                                        ; =>  This Inner Loop Header: Depth=2
	global_load_dwordx2 v[1:2], v0, s[0:1] glc
	s_waitcnt vmcnt(0)
	v_cmp_ne_u64_e32 vcc, s[8:9], v[1:2]
	s_cbranch_vccnz .LBB1_947
; %bb.948:                              ;   in Loop: Header=BB1_1 Depth=1
	v_mov_b32_e32 v1, s8
	v_mov_b32_e32 v2, s9
	s_add_i32 s8, s4, 0x1da
	s_mov_b32 s9, s5
	global_store_dwordx2 v0, v[1:2], s[2:3]
.LBB1_949:                              ;   Parent Loop BB1_1 Depth=1
                                        ; =>  This Inner Loop Header: Depth=2
	global_load_dwordx2 v[1:2], v0, s[0:1] glc
	s_waitcnt vmcnt(0)
	v_cmp_ne_u64_e32 vcc, s[8:9], v[1:2]
	s_cbranch_vccnz .LBB1_949
; %bb.950:                              ;   in Loop: Header=BB1_1 Depth=1
	v_mov_b32_e32 v1, s8
	v_mov_b32_e32 v2, s9
	s_add_i32 s8, s4, 0x1db
	s_mov_b32 s9, s5
	global_store_dwordx2 v0, v[1:2], s[2:3]
.LBB1_951:                              ;   Parent Loop BB1_1 Depth=1
                                        ; =>  This Inner Loop Header: Depth=2
	global_load_dwordx2 v[1:2], v0, s[0:1] glc
	s_waitcnt vmcnt(0)
	v_cmp_ne_u64_e32 vcc, s[8:9], v[1:2]
	s_cbranch_vccnz .LBB1_951
; %bb.952:                              ;   in Loop: Header=BB1_1 Depth=1
	v_mov_b32_e32 v1, s8
	v_mov_b32_e32 v2, s9
	s_add_i32 s8, s4, 0x1dc
	s_mov_b32 s9, s5
	global_store_dwordx2 v0, v[1:2], s[2:3]
.LBB1_953:                              ;   Parent Loop BB1_1 Depth=1
                                        ; =>  This Inner Loop Header: Depth=2
	global_load_dwordx2 v[1:2], v0, s[0:1] glc
	s_waitcnt vmcnt(0)
	v_cmp_ne_u64_e32 vcc, s[8:9], v[1:2]
	s_cbranch_vccnz .LBB1_953
; %bb.954:                              ;   in Loop: Header=BB1_1 Depth=1
	v_mov_b32_e32 v1, s8
	v_mov_b32_e32 v2, s9
	s_add_i32 s8, s4, 0x1dd
	s_mov_b32 s9, s5
	global_store_dwordx2 v0, v[1:2], s[2:3]
.LBB1_955:                              ;   Parent Loop BB1_1 Depth=1
                                        ; =>  This Inner Loop Header: Depth=2
	global_load_dwordx2 v[1:2], v0, s[0:1] glc
	s_waitcnt vmcnt(0)
	v_cmp_ne_u64_e32 vcc, s[8:9], v[1:2]
	s_cbranch_vccnz .LBB1_955
; %bb.956:                              ;   in Loop: Header=BB1_1 Depth=1
	v_mov_b32_e32 v1, s8
	v_mov_b32_e32 v2, s9
	s_add_i32 s8, s4, 0x1de
	s_mov_b32 s9, s5
	global_store_dwordx2 v0, v[1:2], s[2:3]
.LBB1_957:                              ;   Parent Loop BB1_1 Depth=1
                                        ; =>  This Inner Loop Header: Depth=2
	global_load_dwordx2 v[1:2], v0, s[0:1] glc
	s_waitcnt vmcnt(0)
	v_cmp_ne_u64_e32 vcc, s[8:9], v[1:2]
	s_cbranch_vccnz .LBB1_957
; %bb.958:                              ;   in Loop: Header=BB1_1 Depth=1
	v_mov_b32_e32 v1, s8
	v_mov_b32_e32 v2, s9
	s_add_i32 s8, s4, 0x1df
	s_mov_b32 s9, s5
	global_store_dwordx2 v0, v[1:2], s[2:3]
.LBB1_959:                              ;   Parent Loop BB1_1 Depth=1
                                        ; =>  This Inner Loop Header: Depth=2
	global_load_dwordx2 v[1:2], v0, s[0:1] glc
	s_waitcnt vmcnt(0)
	v_cmp_ne_u64_e32 vcc, s[8:9], v[1:2]
	s_cbranch_vccnz .LBB1_959
; %bb.960:                              ;   in Loop: Header=BB1_1 Depth=1
	v_mov_b32_e32 v1, s8
	v_mov_b32_e32 v2, s9
	s_add_i32 s8, s4, 0x1e0
	s_mov_b32 s9, s5
	global_store_dwordx2 v0, v[1:2], s[2:3]
.LBB1_961:                              ;   Parent Loop BB1_1 Depth=1
                                        ; =>  This Inner Loop Header: Depth=2
	global_load_dwordx2 v[1:2], v0, s[0:1] glc
	s_waitcnt vmcnt(0)
	v_cmp_ne_u64_e32 vcc, s[8:9], v[1:2]
	s_cbranch_vccnz .LBB1_961
; %bb.962:                              ;   in Loop: Header=BB1_1 Depth=1
	v_mov_b32_e32 v1, s8
	v_mov_b32_e32 v2, s9
	s_add_i32 s8, s4, 0x1e1
	s_mov_b32 s9, s5
	global_store_dwordx2 v0, v[1:2], s[2:3]
.LBB1_963:                              ;   Parent Loop BB1_1 Depth=1
                                        ; =>  This Inner Loop Header: Depth=2
	global_load_dwordx2 v[1:2], v0, s[0:1] glc
	s_waitcnt vmcnt(0)
	v_cmp_ne_u64_e32 vcc, s[8:9], v[1:2]
	s_cbranch_vccnz .LBB1_963
; %bb.964:                              ;   in Loop: Header=BB1_1 Depth=1
	v_mov_b32_e32 v1, s8
	v_mov_b32_e32 v2, s9
	s_add_i32 s8, s4, 0x1e2
	s_mov_b32 s9, s5
	global_store_dwordx2 v0, v[1:2], s[2:3]
.LBB1_965:                              ;   Parent Loop BB1_1 Depth=1
                                        ; =>  This Inner Loop Header: Depth=2
	global_load_dwordx2 v[1:2], v0, s[0:1] glc
	s_waitcnt vmcnt(0)
	v_cmp_ne_u64_e32 vcc, s[8:9], v[1:2]
	s_cbranch_vccnz .LBB1_965
; %bb.966:                              ;   in Loop: Header=BB1_1 Depth=1
	v_mov_b32_e32 v1, s8
	v_mov_b32_e32 v2, s9
	s_add_i32 s8, s4, 0x1e3
	s_mov_b32 s9, s5
	global_store_dwordx2 v0, v[1:2], s[2:3]
.LBB1_967:                              ;   Parent Loop BB1_1 Depth=1
                                        ; =>  This Inner Loop Header: Depth=2
	global_load_dwordx2 v[1:2], v0, s[0:1] glc
	s_waitcnt vmcnt(0)
	v_cmp_ne_u64_e32 vcc, s[8:9], v[1:2]
	s_cbranch_vccnz .LBB1_967
; %bb.968:                              ;   in Loop: Header=BB1_1 Depth=1
	v_mov_b32_e32 v1, s8
	v_mov_b32_e32 v2, s9
	s_add_i32 s8, s4, 0x1e4
	s_mov_b32 s9, s5
	global_store_dwordx2 v0, v[1:2], s[2:3]
.LBB1_969:                              ;   Parent Loop BB1_1 Depth=1
                                        ; =>  This Inner Loop Header: Depth=2
	global_load_dwordx2 v[1:2], v0, s[0:1] glc
	s_waitcnt vmcnt(0)
	v_cmp_ne_u64_e32 vcc, s[8:9], v[1:2]
	s_cbranch_vccnz .LBB1_969
; %bb.970:                              ;   in Loop: Header=BB1_1 Depth=1
	v_mov_b32_e32 v1, s8
	v_mov_b32_e32 v2, s9
	s_add_i32 s8, s4, 0x1e5
	s_mov_b32 s9, s5
	global_store_dwordx2 v0, v[1:2], s[2:3]
.LBB1_971:                              ;   Parent Loop BB1_1 Depth=1
                                        ; =>  This Inner Loop Header: Depth=2
	global_load_dwordx2 v[1:2], v0, s[0:1] glc
	s_waitcnt vmcnt(0)
	v_cmp_ne_u64_e32 vcc, s[8:9], v[1:2]
	s_cbranch_vccnz .LBB1_971
; %bb.972:                              ;   in Loop: Header=BB1_1 Depth=1
	v_mov_b32_e32 v1, s8
	v_mov_b32_e32 v2, s9
	s_add_i32 s8, s4, 0x1e6
	s_mov_b32 s9, s5
	global_store_dwordx2 v0, v[1:2], s[2:3]
.LBB1_973:                              ;   Parent Loop BB1_1 Depth=1
                                        ; =>  This Inner Loop Header: Depth=2
	global_load_dwordx2 v[1:2], v0, s[0:1] glc
	s_waitcnt vmcnt(0)
	v_cmp_ne_u64_e32 vcc, s[8:9], v[1:2]
	s_cbranch_vccnz .LBB1_973
; %bb.974:                              ;   in Loop: Header=BB1_1 Depth=1
	v_mov_b32_e32 v1, s8
	v_mov_b32_e32 v2, s9
	s_add_i32 s8, s4, 0x1e7
	s_mov_b32 s9, s5
	global_store_dwordx2 v0, v[1:2], s[2:3]
.LBB1_975:                              ;   Parent Loop BB1_1 Depth=1
                                        ; =>  This Inner Loop Header: Depth=2
	global_load_dwordx2 v[1:2], v0, s[0:1] glc
	s_waitcnt vmcnt(0)
	v_cmp_ne_u64_e32 vcc, s[8:9], v[1:2]
	s_cbranch_vccnz .LBB1_975
; %bb.976:                              ;   in Loop: Header=BB1_1 Depth=1
	v_mov_b32_e32 v1, s8
	v_mov_b32_e32 v2, s9
	s_add_i32 s8, s4, 0x1e8
	s_mov_b32 s9, s5
	global_store_dwordx2 v0, v[1:2], s[2:3]
.LBB1_977:                              ;   Parent Loop BB1_1 Depth=1
                                        ; =>  This Inner Loop Header: Depth=2
	global_load_dwordx2 v[1:2], v0, s[0:1] glc
	s_waitcnt vmcnt(0)
	v_cmp_ne_u64_e32 vcc, s[8:9], v[1:2]
	s_cbranch_vccnz .LBB1_977
; %bb.978:                              ;   in Loop: Header=BB1_1 Depth=1
	v_mov_b32_e32 v1, s8
	v_mov_b32_e32 v2, s9
	s_add_i32 s8, s4, 0x1e9
	s_mov_b32 s9, s5
	global_store_dwordx2 v0, v[1:2], s[2:3]
.LBB1_979:                              ;   Parent Loop BB1_1 Depth=1
                                        ; =>  This Inner Loop Header: Depth=2
	global_load_dwordx2 v[1:2], v0, s[0:1] glc
	s_waitcnt vmcnt(0)
	v_cmp_ne_u64_e32 vcc, s[8:9], v[1:2]
	s_cbranch_vccnz .LBB1_979
; %bb.980:                              ;   in Loop: Header=BB1_1 Depth=1
	v_mov_b32_e32 v1, s8
	v_mov_b32_e32 v2, s9
	s_add_i32 s8, s4, 0x1ea
	s_mov_b32 s9, s5
	global_store_dwordx2 v0, v[1:2], s[2:3]
.LBB1_981:                              ;   Parent Loop BB1_1 Depth=1
                                        ; =>  This Inner Loop Header: Depth=2
	global_load_dwordx2 v[1:2], v0, s[0:1] glc
	s_waitcnt vmcnt(0)
	v_cmp_ne_u64_e32 vcc, s[8:9], v[1:2]
	s_cbranch_vccnz .LBB1_981
; %bb.982:                              ;   in Loop: Header=BB1_1 Depth=1
	v_mov_b32_e32 v1, s8
	v_mov_b32_e32 v2, s9
	s_add_i32 s8, s4, 0x1eb
	s_mov_b32 s9, s5
	global_store_dwordx2 v0, v[1:2], s[2:3]
.LBB1_983:                              ;   Parent Loop BB1_1 Depth=1
                                        ; =>  This Inner Loop Header: Depth=2
	global_load_dwordx2 v[1:2], v0, s[0:1] glc
	s_waitcnt vmcnt(0)
	v_cmp_ne_u64_e32 vcc, s[8:9], v[1:2]
	s_cbranch_vccnz .LBB1_983
; %bb.984:                              ;   in Loop: Header=BB1_1 Depth=1
	v_mov_b32_e32 v1, s8
	v_mov_b32_e32 v2, s9
	s_add_i32 s8, s4, 0x1ec
	s_mov_b32 s9, s5
	global_store_dwordx2 v0, v[1:2], s[2:3]
.LBB1_985:                              ;   Parent Loop BB1_1 Depth=1
                                        ; =>  This Inner Loop Header: Depth=2
	global_load_dwordx2 v[1:2], v0, s[0:1] glc
	s_waitcnt vmcnt(0)
	v_cmp_ne_u64_e32 vcc, s[8:9], v[1:2]
	s_cbranch_vccnz .LBB1_985
; %bb.986:                              ;   in Loop: Header=BB1_1 Depth=1
	v_mov_b32_e32 v1, s8
	v_mov_b32_e32 v2, s9
	s_add_i32 s8, s4, 0x1ed
	s_mov_b32 s9, s5
	global_store_dwordx2 v0, v[1:2], s[2:3]
.LBB1_987:                              ;   Parent Loop BB1_1 Depth=1
                                        ; =>  This Inner Loop Header: Depth=2
	global_load_dwordx2 v[1:2], v0, s[0:1] glc
	s_waitcnt vmcnt(0)
	v_cmp_ne_u64_e32 vcc, s[8:9], v[1:2]
	s_cbranch_vccnz .LBB1_987
; %bb.988:                              ;   in Loop: Header=BB1_1 Depth=1
	v_mov_b32_e32 v1, s8
	v_mov_b32_e32 v2, s9
	s_add_i32 s8, s4, 0x1ee
	s_mov_b32 s9, s5
	global_store_dwordx2 v0, v[1:2], s[2:3]
.LBB1_989:                              ;   Parent Loop BB1_1 Depth=1
                                        ; =>  This Inner Loop Header: Depth=2
	global_load_dwordx2 v[1:2], v0, s[0:1] glc
	s_waitcnt vmcnt(0)
	v_cmp_ne_u64_e32 vcc, s[8:9], v[1:2]
	s_cbranch_vccnz .LBB1_989
; %bb.990:                              ;   in Loop: Header=BB1_1 Depth=1
	v_mov_b32_e32 v1, s8
	v_mov_b32_e32 v2, s9
	s_add_i32 s8, s4, 0x1ef
	s_mov_b32 s9, s5
	global_store_dwordx2 v0, v[1:2], s[2:3]
.LBB1_991:                              ;   Parent Loop BB1_1 Depth=1
                                        ; =>  This Inner Loop Header: Depth=2
	global_load_dwordx2 v[1:2], v0, s[0:1] glc
	s_waitcnt vmcnt(0)
	v_cmp_ne_u64_e32 vcc, s[8:9], v[1:2]
	s_cbranch_vccnz .LBB1_991
; %bb.992:                              ;   in Loop: Header=BB1_1 Depth=1
	v_mov_b32_e32 v1, s8
	v_mov_b32_e32 v2, s9
	s_add_i32 s8, s4, 0x1f0
	s_mov_b32 s9, s5
	global_store_dwordx2 v0, v[1:2], s[2:3]
.LBB1_993:                              ;   Parent Loop BB1_1 Depth=1
                                        ; =>  This Inner Loop Header: Depth=2
	global_load_dwordx2 v[1:2], v0, s[0:1] glc
	s_waitcnt vmcnt(0)
	v_cmp_ne_u64_e32 vcc, s[8:9], v[1:2]
	s_cbranch_vccnz .LBB1_993
; %bb.994:                              ;   in Loop: Header=BB1_1 Depth=1
	v_mov_b32_e32 v1, s8
	v_mov_b32_e32 v2, s9
	s_add_i32 s8, s4, 0x1f1
	s_mov_b32 s9, s5
	global_store_dwordx2 v0, v[1:2], s[2:3]
.LBB1_995:                              ;   Parent Loop BB1_1 Depth=1
                                        ; =>  This Inner Loop Header: Depth=2
	global_load_dwordx2 v[1:2], v0, s[0:1] glc
	s_waitcnt vmcnt(0)
	v_cmp_ne_u64_e32 vcc, s[8:9], v[1:2]
	s_cbranch_vccnz .LBB1_995
; %bb.996:                              ;   in Loop: Header=BB1_1 Depth=1
	v_mov_b32_e32 v1, s8
	v_mov_b32_e32 v2, s9
	s_add_i32 s8, s4, 0x1f2
	s_mov_b32 s9, s5
	global_store_dwordx2 v0, v[1:2], s[2:3]
.LBB1_997:                              ;   Parent Loop BB1_1 Depth=1
                                        ; =>  This Inner Loop Header: Depth=2
	global_load_dwordx2 v[1:2], v0, s[0:1] glc
	s_waitcnt vmcnt(0)
	v_cmp_ne_u64_e32 vcc, s[8:9], v[1:2]
	s_cbranch_vccnz .LBB1_997
; %bb.998:                              ;   in Loop: Header=BB1_1 Depth=1
	v_mov_b32_e32 v1, s8
	v_mov_b32_e32 v2, s9
	s_add_i32 s8, s4, 0x1f3
	s_mov_b32 s9, s5
	global_store_dwordx2 v0, v[1:2], s[2:3]
.LBB1_999:                              ;   Parent Loop BB1_1 Depth=1
                                        ; =>  This Inner Loop Header: Depth=2
	global_load_dwordx2 v[1:2], v0, s[0:1] glc
	s_waitcnt vmcnt(0)
	v_cmp_ne_u64_e32 vcc, s[8:9], v[1:2]
	s_cbranch_vccnz .LBB1_999
; %bb.1000:                             ;   in Loop: Header=BB1_1 Depth=1
	v_mov_b32_e32 v1, s8
	v_mov_b32_e32 v2, s9
	s_add_i32 s8, s4, 0x1f4
	s_mov_b32 s9, s5
	global_store_dwordx2 v0, v[1:2], s[2:3]
.LBB1_1001:                             ;   Parent Loop BB1_1 Depth=1
                                        ; =>  This Inner Loop Header: Depth=2
	global_load_dwordx2 v[1:2], v0, s[0:1] glc
	s_waitcnt vmcnt(0)
	v_cmp_ne_u64_e32 vcc, s[8:9], v[1:2]
	s_cbranch_vccnz .LBB1_1001
; %bb.1002:                             ;   in Loop: Header=BB1_1 Depth=1
	v_mov_b32_e32 v1, s8
	v_mov_b32_e32 v2, s9
	s_add_i32 s8, s4, 0x1f5
	s_mov_b32 s9, s5
	global_store_dwordx2 v0, v[1:2], s[2:3]
.LBB1_1003:                             ;   Parent Loop BB1_1 Depth=1
                                        ; =>  This Inner Loop Header: Depth=2
	global_load_dwordx2 v[1:2], v0, s[0:1] glc
	s_waitcnt vmcnt(0)
	v_cmp_ne_u64_e32 vcc, s[8:9], v[1:2]
	s_cbranch_vccnz .LBB1_1003
	;; [unrolled: 12-line block ×500, first 2 shown]
; %bb.2000:                             ;   in Loop: Header=BB1_1 Depth=1
	v_mov_b32_e32 v1, s8
	s_addk_i32 s4, 0x3e8
	v_mov_b32_e32 v2, s9
	s_cmpk_eq_i32 s4, 0x7d1
	global_store_dwordx2 v0, v[1:2], s[2:3]
	s_cbranch_scc0 .LBB1_1
; %bb.2001:
	s_memrealtime s[4:5]
	s_movk_i32 s8, 0x7d1
	s_mov_b32 s9, 0
	v_mov_b32_e32 v0, 0
.LBB1_2002:                             ; =>This Loop Header: Depth=1
                                        ;     Child Loop BB1_2004 Depth 2
                                        ;     Child Loop BB1_2006 Depth 2
	;; [unrolled: 1-line block ×1249, first 2 shown]
	global_load_dwordx2 v[1:2], v0, s[0:1] glc
	s_waitcnt vmcnt(0)
	v_cmp_ne_u64_e32 vcc, s[8:9], v[1:2]
	s_cbranch_vccnz .LBB1_2002
; %bb.2003:                             ;   in Loop: Header=BB1_2002 Depth=1
	v_mov_b32_e32 v1, s8
	v_mov_b32_e32 v2, s9
	s_add_i32 s10, s8, 1
	s_mov_b32 s11, s9
	global_store_dwordx2 v0, v[1:2], s[2:3]
.LBB1_2004:                             ;   Parent Loop BB1_2002 Depth=1
                                        ; =>  This Inner Loop Header: Depth=2
	global_load_dwordx2 v[1:2], v0, s[0:1] glc
	s_waitcnt vmcnt(0)
	v_cmp_ne_u64_e32 vcc, s[10:11], v[1:2]
	s_cbranch_vccnz .LBB1_2004
; %bb.2005:                             ;   in Loop: Header=BB1_2002 Depth=1
	v_mov_b32_e32 v1, s10
	v_mov_b32_e32 v2, s11
	s_add_i32 s10, s8, 2
	s_mov_b32 s11, s9
	global_store_dwordx2 v0, v[1:2], s[2:3]
.LBB1_2006:                             ;   Parent Loop BB1_2002 Depth=1
                                        ; =>  This Inner Loop Header: Depth=2
	global_load_dwordx2 v[1:2], v0, s[0:1] glc
	s_waitcnt vmcnt(0)
	v_cmp_ne_u64_e32 vcc, s[10:11], v[1:2]
	s_cbranch_vccnz .LBB1_2006
	;; [unrolled: 12-line block ×1249, first 2 shown]
; %bb.4501:                             ;   in Loop: Header=BB1_2002 Depth=1
	v_mov_b32_e32 v1, s10
	s_addk_i32 s8, 0x4e2
	v_mov_b32_e32 v2, s11
	s_cmpk_eq_i32 s8, 0x2ee1
	global_store_dwordx2 v0, v[1:2], s[2:3]
	s_cbranch_scc0 .LBB1_2002
; %bb.4502:
	s_memrealtime s[0:1]
	v_mov_b32_e32 v2, 0
	s_waitcnt lgkmcnt(0)
	s_sub_u32 s0, s0, s4
	s_subb_u32 s1, s1, s5
	v_mov_b32_e32 v0, s0
	v_mov_b32_e32 v1, s1
	global_store_dwordx2 v2, v[0:1], s[6:7]
	s_endpgm
	.section	.rodata,"a",@progbits
	.p2align	6, 0x0
	.amdhsa_kernel _Z10PongKernelPmS_S_
		.amdhsa_group_segment_fixed_size 0
		.amdhsa_private_segment_fixed_size 0
		.amdhsa_kernarg_size 24
		.amdhsa_user_sgpr_count 6
		.amdhsa_user_sgpr_private_segment_buffer 1
		.amdhsa_user_sgpr_dispatch_ptr 0
		.amdhsa_user_sgpr_queue_ptr 0
		.amdhsa_user_sgpr_kernarg_segment_ptr 1
		.amdhsa_user_sgpr_dispatch_id 0
		.amdhsa_user_sgpr_flat_scratch_init 0
		.amdhsa_user_sgpr_private_segment_size 0
		.amdhsa_uses_dynamic_stack 0
		.amdhsa_system_sgpr_private_segment_wavefront_offset 0
		.amdhsa_system_sgpr_workgroup_id_x 1
		.amdhsa_system_sgpr_workgroup_id_y 0
		.amdhsa_system_sgpr_workgroup_id_z 0
		.amdhsa_system_sgpr_workgroup_info 0
		.amdhsa_system_vgpr_workitem_id 0
		.amdhsa_next_free_vgpr 3
		.amdhsa_next_free_sgpr 12
		.amdhsa_reserve_vcc 1
		.amdhsa_reserve_flat_scratch 0
		.amdhsa_float_round_mode_32 0
		.amdhsa_float_round_mode_16_64 0
		.amdhsa_float_denorm_mode_32 3
		.amdhsa_float_denorm_mode_16_64 3
		.amdhsa_dx10_clamp 1
		.amdhsa_ieee_mode 1
		.amdhsa_fp16_overflow 0
		.amdhsa_exception_fp_ieee_invalid_op 0
		.amdhsa_exception_fp_denorm_src 0
		.amdhsa_exception_fp_ieee_div_zero 0
		.amdhsa_exception_fp_ieee_overflow 0
		.amdhsa_exception_fp_ieee_underflow 0
		.amdhsa_exception_fp_ieee_inexact 0
		.amdhsa_exception_int_div_zero 0
	.end_amdhsa_kernel
	.text
.Lfunc_end1:
	.size	_Z10PongKernelPmS_S_, .Lfunc_end1-_Z10PongKernelPmS_S_
                                        ; -- End function
	.set _Z10PongKernelPmS_S_.num_vgpr, 3
	.set _Z10PongKernelPmS_S_.num_agpr, 0
	.set _Z10PongKernelPmS_S_.numbered_sgpr, 12
	.set _Z10PongKernelPmS_S_.num_named_barrier, 0
	.set _Z10PongKernelPmS_S_.private_seg_size, 0
	.set _Z10PongKernelPmS_S_.uses_vcc, 1
	.set _Z10PongKernelPmS_S_.uses_flat_scratch, 0
	.set _Z10PongKernelPmS_S_.has_dyn_sized_stack, 0
	.set _Z10PongKernelPmS_S_.has_recursion, 0
	.set _Z10PongKernelPmS_S_.has_indirect_call, 0
	.section	.AMDGPU.csdata,"",@progbits
; Kernel info:
; codeLenInByte = 107584
; TotalNumSgprs: 16
; NumVgprs: 3
; ScratchSize: 0
; MemoryBound: 1
; FloatMode: 240
; IeeeMode: 1
; LDSByteSize: 0 bytes/workgroup (compile time only)
; SGPRBlocks: 1
; VGPRBlocks: 0
; NumSGPRsForWavesPerEU: 16
; NumVGPRsForWavesPerEU: 3
; Occupancy: 10
; WaveLimiterHint : 0
; COMPUTE_PGM_RSRC2:SCRATCH_EN: 0
; COMPUTE_PGM_RSRC2:USER_SGPR: 6
; COMPUTE_PGM_RSRC2:TRAP_HANDLER: 0
; COMPUTE_PGM_RSRC2:TGID_X_EN: 1
; COMPUTE_PGM_RSRC2:TGID_Y_EN: 0
; COMPUTE_PGM_RSRC2:TGID_Z_EN: 0
; COMPUTE_PGM_RSRC2:TIDIG_COMP_CNT: 0
	.section	.AMDGPU.gpr_maximums,"",@progbits
	.set amdgpu.max_num_vgpr, 0
	.set amdgpu.max_num_agpr, 0
	.set amdgpu.max_num_sgpr, 0
	.section	.AMDGPU.csdata,"",@progbits
	.type	__hip_cuid_6019b765cdeb26da,@object ; @__hip_cuid_6019b765cdeb26da
	.section	.bss,"aw",@nobits
	.globl	__hip_cuid_6019b765cdeb26da
__hip_cuid_6019b765cdeb26da:
	.byte	0                               ; 0x0
	.size	__hip_cuid_6019b765cdeb26da, 1

	.ident	"AMD clang version 22.0.0git (https://github.com/RadeonOpenCompute/llvm-project roc-7.2.4 26084 f58b06dce1f9c15707c5f808fd002e18c2accf7e)"
	.section	".note.GNU-stack","",@progbits
	.addrsig
	.addrsig_sym __hip_cuid_6019b765cdeb26da
	.amdgpu_metadata
---
amdhsa.kernels:
  - .args:
      - .address_space:  global
        .offset:         0
        .size:           8
        .value_kind:     global_buffer
      - .address_space:  global
        .offset:         8
        .size:           8
        .value_kind:     global_buffer
      - .address_space:  global
        .offset:         16
        .size:           8
        .value_kind:     global_buffer
    .group_segment_fixed_size: 0
    .kernarg_segment_align: 8
    .kernarg_segment_size: 24
    .language:       OpenCL C
    .language_version:
      - 2
      - 0
    .max_flat_workgroup_size: 1024
    .name:           _Z10PingKernelPmS_S_
    .private_segment_fixed_size: 0
    .sgpr_count:     16
    .sgpr_spill_count: 0
    .symbol:         _Z10PingKernelPmS_S_.kd
    .uniform_work_group_size: 1
    .uses_dynamic_stack: false
    .vgpr_count:     3
    .vgpr_spill_count: 0
    .wavefront_size: 64
  - .args:
      - .address_space:  global
        .offset:         0
        .size:           8
        .value_kind:     global_buffer
      - .address_space:  global
        .offset:         8
        .size:           8
        .value_kind:     global_buffer
      - .address_space:  global
        .offset:         16
        .size:           8
        .value_kind:     global_buffer
    .group_segment_fixed_size: 0
    .kernarg_segment_align: 8
    .kernarg_segment_size: 24
    .language:       OpenCL C
    .language_version:
      - 2
      - 0
    .max_flat_workgroup_size: 1024
    .name:           _Z10PongKernelPmS_S_
    .private_segment_fixed_size: 0
    .sgpr_count:     16
    .sgpr_spill_count: 0
    .symbol:         _Z10PongKernelPmS_S_.kd
    .uniform_work_group_size: 1
    .uses_dynamic_stack: false
    .vgpr_count:     3
    .vgpr_spill_count: 0
    .wavefront_size: 64
amdhsa.target:   amdgcn-amd-amdhsa--gfx906
amdhsa.version:
  - 1
  - 2
...

	.end_amdgpu_metadata
